;; amdgpu-corpus repo=ROCm/rocFFT kind=compiled arch=gfx906 opt=O3
	.text
	.amdgcn_target "amdgcn-amd-amdhsa--gfx906"
	.amdhsa_code_object_version 6
	.protected	fft_rtc_fwd_len2430_factors_10_3_3_3_3_3_wgs_81_tpt_81_halfLds_half_op_CI_CI_unitstride_sbrr_C2R_dirReg ; -- Begin function fft_rtc_fwd_len2430_factors_10_3_3_3_3_3_wgs_81_tpt_81_halfLds_half_op_CI_CI_unitstride_sbrr_C2R_dirReg
	.globl	fft_rtc_fwd_len2430_factors_10_3_3_3_3_3_wgs_81_tpt_81_halfLds_half_op_CI_CI_unitstride_sbrr_C2R_dirReg
	.p2align	8
	.type	fft_rtc_fwd_len2430_factors_10_3_3_3_3_3_wgs_81_tpt_81_halfLds_half_op_CI_CI_unitstride_sbrr_C2R_dirReg,@function
fft_rtc_fwd_len2430_factors_10_3_3_3_3_3_wgs_81_tpt_81_halfLds_half_op_CI_CI_unitstride_sbrr_C2R_dirReg: ; @fft_rtc_fwd_len2430_factors_10_3_3_3_3_3_wgs_81_tpt_81_halfLds_half_op_CI_CI_unitstride_sbrr_C2R_dirReg
; %bb.0:
	s_load_dwordx4 s[8:11], s[4:5], 0x58
	s_load_dwordx4 s[12:15], s[4:5], 0x0
	;; [unrolled: 1-line block ×3, first 2 shown]
	v_mul_u32_u24_e32 v1, 0x32a, v0
	v_mov_b32_e32 v3, 0
	v_mov_b32_e32 v7, 0
	s_waitcnt lgkmcnt(0)
	v_cmp_lt_u64_e64 s[0:1], s[14:15], 2
	v_add_u32_sdwa v9, s6, v1 dst_sel:DWORD dst_unused:UNUSED_PAD src0_sel:DWORD src1_sel:WORD_1
	v_mov_b32_e32 v10, v3
	s_and_b64 vcc, exec, s[0:1]
	v_mov_b32_e32 v8, 0
	s_cbranch_vccnz .LBB0_8
; %bb.1:
	s_load_dwordx2 s[0:1], s[4:5], 0x10
	s_add_u32 s2, s18, 8
	s_addc_u32 s3, s19, 0
	s_add_u32 s6, s16, 8
	s_addc_u32 s7, s17, 0
	v_mov_b32_e32 v7, 0
	s_waitcnt lgkmcnt(0)
	s_add_u32 s20, s0, 8
	v_mov_b32_e32 v8, 0
	v_mov_b32_e32 v1, v7
	s_addc_u32 s21, s1, 0
	s_mov_b64 s[22:23], 1
	v_mov_b32_e32 v2, v8
.LBB0_2:                                ; =>This Inner Loop Header: Depth=1
	s_load_dwordx2 s[24:25], s[20:21], 0x0
                                        ; implicit-def: $vgpr5_vgpr6
	s_waitcnt lgkmcnt(0)
	v_or_b32_e32 v4, s25, v10
	v_cmp_ne_u64_e32 vcc, 0, v[3:4]
	s_and_saveexec_b64 s[0:1], vcc
	s_xor_b64 s[26:27], exec, s[0:1]
	s_cbranch_execz .LBB0_4
; %bb.3:                                ;   in Loop: Header=BB0_2 Depth=1
	v_cvt_f32_u32_e32 v4, s24
	v_cvt_f32_u32_e32 v5, s25
	s_sub_u32 s0, 0, s24
	s_subb_u32 s1, 0, s25
	v_mac_f32_e32 v4, 0x4f800000, v5
	v_rcp_f32_e32 v4, v4
	v_mul_f32_e32 v4, 0x5f7ffffc, v4
	v_mul_f32_e32 v5, 0x2f800000, v4
	v_trunc_f32_e32 v5, v5
	v_mac_f32_e32 v4, 0xcf800000, v5
	v_cvt_u32_f32_e32 v5, v5
	v_cvt_u32_f32_e32 v4, v4
	v_mul_lo_u32 v6, s0, v5
	v_mul_hi_u32 v11, s0, v4
	v_mul_lo_u32 v13, s1, v4
	v_mul_lo_u32 v12, s0, v4
	v_add_u32_e32 v6, v11, v6
	v_add_u32_e32 v6, v6, v13
	v_mul_hi_u32 v11, v4, v12
	v_mul_lo_u32 v13, v4, v6
	v_mul_hi_u32 v15, v4, v6
	v_mul_hi_u32 v14, v5, v12
	v_mul_lo_u32 v12, v5, v12
	v_mul_hi_u32 v16, v5, v6
	v_add_co_u32_e32 v11, vcc, v11, v13
	v_addc_co_u32_e32 v13, vcc, 0, v15, vcc
	v_mul_lo_u32 v6, v5, v6
	v_add_co_u32_e32 v11, vcc, v11, v12
	v_addc_co_u32_e32 v11, vcc, v13, v14, vcc
	v_addc_co_u32_e32 v12, vcc, 0, v16, vcc
	v_add_co_u32_e32 v6, vcc, v11, v6
	v_addc_co_u32_e32 v11, vcc, 0, v12, vcc
	v_add_co_u32_e32 v4, vcc, v4, v6
	v_addc_co_u32_e32 v5, vcc, v5, v11, vcc
	v_mul_lo_u32 v6, s0, v5
	v_mul_hi_u32 v11, s0, v4
	v_mul_lo_u32 v12, s1, v4
	v_mul_lo_u32 v13, s0, v4
	v_add_u32_e32 v6, v11, v6
	v_add_u32_e32 v6, v6, v12
	v_mul_lo_u32 v14, v4, v6
	v_mul_hi_u32 v15, v4, v13
	v_mul_hi_u32 v16, v4, v6
	v_mul_hi_u32 v12, v5, v13
	v_mul_lo_u32 v13, v5, v13
	v_mul_hi_u32 v11, v5, v6
	v_add_co_u32_e32 v14, vcc, v15, v14
	v_addc_co_u32_e32 v15, vcc, 0, v16, vcc
	v_mul_lo_u32 v6, v5, v6
	v_add_co_u32_e32 v13, vcc, v14, v13
	v_addc_co_u32_e32 v12, vcc, v15, v12, vcc
	v_addc_co_u32_e32 v11, vcc, 0, v11, vcc
	v_add_co_u32_e32 v6, vcc, v12, v6
	v_addc_co_u32_e32 v11, vcc, 0, v11, vcc
	v_add_co_u32_e32 v6, vcc, v4, v6
	v_addc_co_u32_e32 v11, vcc, v5, v11, vcc
	v_mad_u64_u32 v[4:5], s[0:1], v9, v11, 0
	v_mul_hi_u32 v12, v9, v6
	v_add_co_u32_e32 v13, vcc, v12, v4
	v_addc_co_u32_e32 v14, vcc, 0, v5, vcc
	v_mad_u64_u32 v[4:5], s[0:1], v10, v6, 0
	v_mad_u64_u32 v[11:12], s[0:1], v10, v11, 0
	v_add_co_u32_e32 v4, vcc, v13, v4
	v_addc_co_u32_e32 v4, vcc, v14, v5, vcc
	v_addc_co_u32_e32 v5, vcc, 0, v12, vcc
	v_add_co_u32_e32 v11, vcc, v4, v11
	v_addc_co_u32_e32 v6, vcc, 0, v5, vcc
	v_mul_lo_u32 v12, s25, v11
	v_mul_lo_u32 v13, s24, v6
	v_mad_u64_u32 v[4:5], s[0:1], s24, v11, 0
	v_add3_u32 v5, v5, v13, v12
	v_sub_u32_e32 v12, v10, v5
	v_mov_b32_e32 v13, s25
	v_sub_co_u32_e32 v4, vcc, v9, v4
	v_subb_co_u32_e64 v12, s[0:1], v12, v13, vcc
	v_subrev_co_u32_e64 v13, s[0:1], s24, v4
	v_subbrev_co_u32_e64 v12, s[0:1], 0, v12, s[0:1]
	v_cmp_le_u32_e64 s[0:1], s25, v12
	v_cndmask_b32_e64 v14, 0, -1, s[0:1]
	v_cmp_le_u32_e64 s[0:1], s24, v13
	v_cndmask_b32_e64 v13, 0, -1, s[0:1]
	v_cmp_eq_u32_e64 s[0:1], s25, v12
	v_cndmask_b32_e64 v12, v14, v13, s[0:1]
	v_add_co_u32_e64 v13, s[0:1], 2, v11
	v_addc_co_u32_e64 v14, s[0:1], 0, v6, s[0:1]
	v_add_co_u32_e64 v15, s[0:1], 1, v11
	v_addc_co_u32_e64 v16, s[0:1], 0, v6, s[0:1]
	v_subb_co_u32_e32 v5, vcc, v10, v5, vcc
	v_cmp_ne_u32_e64 s[0:1], 0, v12
	v_cmp_le_u32_e32 vcc, s25, v5
	v_cndmask_b32_e64 v12, v16, v14, s[0:1]
	v_cndmask_b32_e64 v14, 0, -1, vcc
	v_cmp_le_u32_e32 vcc, s24, v4
	v_cndmask_b32_e64 v4, 0, -1, vcc
	v_cmp_eq_u32_e32 vcc, s25, v5
	v_cndmask_b32_e32 v4, v14, v4, vcc
	v_cmp_ne_u32_e32 vcc, 0, v4
	v_cndmask_b32_e64 v4, v15, v13, s[0:1]
	v_cndmask_b32_e32 v6, v6, v12, vcc
	v_cndmask_b32_e32 v5, v11, v4, vcc
.LBB0_4:                                ;   in Loop: Header=BB0_2 Depth=1
	s_andn2_saveexec_b64 s[0:1], s[26:27]
	s_cbranch_execz .LBB0_6
; %bb.5:                                ;   in Loop: Header=BB0_2 Depth=1
	v_cvt_f32_u32_e32 v4, s24
	s_sub_i32 s26, 0, s24
	v_rcp_iflag_f32_e32 v4, v4
	v_mul_f32_e32 v4, 0x4f7ffffe, v4
	v_cvt_u32_f32_e32 v4, v4
	v_mul_lo_u32 v5, s26, v4
	v_mul_hi_u32 v5, v4, v5
	v_add_u32_e32 v4, v4, v5
	v_mul_hi_u32 v4, v9, v4
	v_mul_lo_u32 v5, v4, s24
	v_add_u32_e32 v6, 1, v4
	v_sub_u32_e32 v5, v9, v5
	v_subrev_u32_e32 v11, s24, v5
	v_cmp_le_u32_e32 vcc, s24, v5
	v_cndmask_b32_e32 v5, v5, v11, vcc
	v_cndmask_b32_e32 v4, v4, v6, vcc
	v_add_u32_e32 v6, 1, v4
	v_cmp_le_u32_e32 vcc, s24, v5
	v_cndmask_b32_e32 v5, v4, v6, vcc
	v_mov_b32_e32 v6, v3
.LBB0_6:                                ;   in Loop: Header=BB0_2 Depth=1
	s_or_b64 exec, exec, s[0:1]
	v_mul_lo_u32 v4, v6, s24
	v_mul_lo_u32 v13, v5, s25
	v_mad_u64_u32 v[11:12], s[0:1], v5, s24, 0
	s_load_dwordx2 s[0:1], s[6:7], 0x0
	s_load_dwordx2 s[24:25], s[2:3], 0x0
	v_add3_u32 v4, v12, v13, v4
	v_sub_co_u32_e32 v9, vcc, v9, v11
	v_subb_co_u32_e32 v4, vcc, v10, v4, vcc
	s_waitcnt lgkmcnt(0)
	v_mul_lo_u32 v10, s0, v4
	v_mul_lo_u32 v11, s1, v9
	v_mad_u64_u32 v[7:8], s[0:1], s0, v9, v[7:8]
	s_add_u32 s22, s22, 1
	s_addc_u32 s23, s23, 0
	s_add_u32 s2, s2, 8
	v_mul_lo_u32 v4, s24, v4
	v_mul_lo_u32 v12, s25, v9
	v_mad_u64_u32 v[1:2], s[0:1], s24, v9, v[1:2]
	v_add3_u32 v8, v11, v8, v10
	s_addc_u32 s3, s3, 0
	v_mov_b32_e32 v9, s14
	s_add_u32 s6, s6, 8
	v_mov_b32_e32 v10, s15
	s_addc_u32 s7, s7, 0
	v_cmp_ge_u64_e32 vcc, s[22:23], v[9:10]
	s_add_u32 s20, s20, 8
	v_add3_u32 v2, v12, v2, v4
	s_addc_u32 s21, s21, 0
	s_cbranch_vccnz .LBB0_9
; %bb.7:                                ;   in Loop: Header=BB0_2 Depth=1
	v_mov_b32_e32 v10, v6
	v_mov_b32_e32 v9, v5
	s_branch .LBB0_2
.LBB0_8:
	v_mov_b32_e32 v1, v7
	v_mov_b32_e32 v5, v9
	;; [unrolled: 1-line block ×4, first 2 shown]
.LBB0_9:
	s_load_dwordx2 s[4:5], s[4:5], 0x28
	s_lshl_b64 s[6:7], s[14:15], 3
	s_add_u32 s2, s18, s6
	s_addc_u32 s3, s19, s7
                                        ; implicit-def: $vgpr3
	s_waitcnt lgkmcnt(0)
	v_cmp_gt_u64_e64 s[0:1], s[4:5], v[5:6]
	v_cmp_le_u64_e32 vcc, s[4:5], v[5:6]
	s_and_saveexec_b64 s[4:5], vcc
	s_xor_b64 s[4:5], exec, s[4:5]
; %bb.10:
	s_mov_b32 s14, 0x3291620
	v_mul_hi_u32 v3, v0, s14
                                        ; implicit-def: $vgpr7_vgpr8
	v_mul_u32_u24_e32 v3, 0x51, v3
	v_sub_u32_e32 v3, v0, v3
                                        ; implicit-def: $vgpr0
; %bb.11:
	s_or_saveexec_b64 s[4:5], s[4:5]
	s_load_dwordx2 s[2:3], s[2:3], 0x0
	s_xor_b64 exec, exec, s[4:5]
	s_cbranch_execz .LBB0_15
; %bb.12:
	s_add_u32 s6, s16, s6
	s_addc_u32 s7, s17, s7
	s_load_dwordx2 s[6:7], s[6:7], 0x0
	s_mov_b32 s14, 0x3291620
	v_mul_hi_u32 v3, v0, s14
	v_lshlrev_b64 v[7:8], 2, v[7:8]
	s_waitcnt lgkmcnt(0)
	v_mul_lo_u32 v4, s7, v5
	v_mul_lo_u32 v11, s6, v6
	v_mad_u64_u32 v[9:10], s[6:7], s6, v5, 0
	v_mul_u32_u24_e32 v3, 0x51, v3
	v_sub_u32_e32 v3, v0, v3
	v_add3_u32 v10, v10, v11, v4
	v_lshlrev_b64 v[9:10], 2, v[9:10]
	v_mov_b32_e32 v0, s9
	v_add_co_u32_e32 v4, vcc, s8, v9
	v_addc_co_u32_e32 v0, vcc, v0, v10, vcc
	v_add_co_u32_e32 v4, vcc, v4, v7
	v_addc_co_u32_e32 v0, vcc, v0, v8, vcc
	v_lshlrev_b32_e32 v13, 2, v3
	v_add_co_u32_e32 v7, vcc, v4, v13
	v_addc_co_u32_e32 v8, vcc, 0, v0, vcc
	s_movk_i32 s6, 0x1000
	v_add_co_u32_e32 v9, vcc, s6, v7
	v_addc_co_u32_e32 v10, vcc, 0, v8, vcc
	v_add_co_u32_e32 v11, vcc, 0x2000, v7
	global_load_dword v14, v[7:8], off offset:1620
	global_load_dword v15, v[7:8], off offset:1944
	;; [unrolled: 1-line block ×3, first 2 shown]
	global_load_dword v17, v[7:8], off
	global_load_dword v18, v[7:8], off offset:324
	global_load_dword v19, v[7:8], off offset:648
	global_load_dword v20, v[7:8], off offset:1296
	global_load_dword v21, v[7:8], off offset:972
	global_load_dword v22, v[7:8], off offset:2592
	global_load_dword v23, v[7:8], off offset:2916
	global_load_dword v24, v[7:8], off offset:3240
	global_load_dword v25, v[7:8], off offset:3564
	global_load_dword v26, v[7:8], off offset:3888
	global_load_dword v27, v[9:10], off offset:116
	global_load_dword v28, v[9:10], off offset:440
	global_load_dword v29, v[9:10], off offset:764
	v_addc_co_u32_e32 v12, vcc, 0, v8, vcc
	global_load_dword v7, v[9:10], off offset:1088
	global_load_dword v8, v[9:10], off offset:1412
	global_load_dword v30, v[9:10], off offset:1736
	global_load_dword v31, v[9:10], off offset:2060
	global_load_dword v32, v[9:10], off offset:2384
	global_load_dword v33, v[9:10], off offset:2708
	global_load_dword v34, v[9:10], off offset:3032
	global_load_dword v35, v[9:10], off offset:3356
	global_load_dword v36, v[9:10], off offset:3680
	global_load_dword v37, v[9:10], off offset:4004
	global_load_dword v38, v[11:12], off offset:232
	global_load_dword v39, v[11:12], off offset:556
	global_load_dword v40, v[11:12], off offset:880
	global_load_dword v41, v[11:12], off offset:1204
	s_movk_i32 s6, 0x50
	v_add_u32_e32 v9, 0, v13
	v_add_u32_e32 v10, 0x400, v9
	v_cmp_eq_u32_e32 vcc, s6, v3
	v_add_u32_e32 v11, 0x600, v9
	v_add_u32_e32 v12, 0x800, v9
	;; [unrolled: 1-line block ×12, first 2 shown]
	s_waitcnt vmcnt(23)
	ds_write2_b32 v10, v20, v14 offset0:68 offset1:149
	ds_write2_b32 v11, v15, v16 offset0:102 offset1:183
	s_waitcnt vmcnt(20)
	ds_write2_b32 v12, v22, v23 offset0:136 offset1:217
	s_waitcnt vmcnt(18)
	ds_write2_b32 v13, v24, v25 offset0:42 offset1:123
	ds_write2_b32 v9, v17, v18 offset1:81
	ds_write2_b32 v9, v19, v21 offset0:162 offset1:243
	s_waitcnt vmcnt(16)
	ds_write2_b32 v42, v26, v27 offset0:76 offset1:157
	s_waitcnt vmcnt(14)
	;; [unrolled: 2-line block ×9, first 2 shown]
	ds_write2_b32 v50, v40, v41 offset0:92 offset1:173
	s_and_saveexec_b64 s[6:7], vcc
	s_cbranch_execz .LBB0_14
; %bb.13:
	v_add_co_u32_e32 v3, vcc, 0x2000, v4
	v_addc_co_u32_e32 v4, vcc, 0, v0, vcc
	global_load_dword v0, v[3:4], off offset:1528
	v_mov_b32_e32 v3, 0
	s_waitcnt vmcnt(0)
	ds_write_b32 v3, v0 offset:9720
	v_mov_b32_e32 v3, 0x50
.LBB0_14:
	s_or_b64 exec, exec, s[6:7]
.LBB0_15:
	s_or_b64 exec, exec, s[4:5]
	v_lshlrev_b32_e32 v4, 2, v3
	v_add_u32_e32 v0, 0, v4
	s_waitcnt lgkmcnt(0)
	s_barrier
	v_sub_u32_e32 v9, 0, v4
	ds_read_u16 v12, v0
	ds_read_u16 v13, v9 offset:9720
	s_add_u32 s6, s12, 0x25d0
	s_addc_u32 s7, s13, 0
	v_cmp_ne_u32_e32 vcc, 0, v3
                                        ; implicit-def: $vgpr7_vgpr8
	s_waitcnt lgkmcnt(0)
	v_add_f16_e32 v10, v13, v12
	v_sub_f16_e32 v11, v12, v13
	s_and_saveexec_b64 s[4:5], vcc
	s_xor_b64 s[4:5], exec, s[4:5]
	s_cbranch_execz .LBB0_17
; %bb.16:
	v_mov_b32_e32 v4, 0
	v_lshlrev_b64 v[7:8], 2, v[3:4]
	v_mov_b32_e32 v10, s7
	v_add_co_u32_e32 v7, vcc, s6, v7
	v_addc_co_u32_e32 v8, vcc, v10, v8, vcc
	global_load_dword v7, v[7:8], off
	ds_read_u16 v8, v9 offset:9722
	ds_read_u16 v10, v0 offset:2
	v_add_f16_e32 v11, v13, v12
	v_sub_f16_e32 v12, v12, v13
	s_waitcnt lgkmcnt(0)
	v_add_f16_e32 v13, v8, v10
	v_sub_f16_e32 v8, v10, v8
	s_waitcnt vmcnt(0)
	v_lshrrev_b32_e32 v10, 16, v7
	v_fma_f16 v14, v12, v10, v11
	v_fma_f16 v15, v13, v10, v8
	v_fma_f16 v16, -v12, v10, v11
	v_fma_f16 v8, v13, v10, -v8
	v_fma_f16 v10, -v7, v13, v14
	v_fma_f16 v11, v12, v7, v15
	v_fma_f16 v13, v7, v13, v16
	;; [unrolled: 1-line block ×3, first 2 shown]
	v_pack_b32_f16 v7, v13, v7
	ds_write_b32 v9, v7 offset:9720
	v_mov_b32_e32 v8, v4
	v_mov_b32_e32 v7, v3
.LBB0_17:
	s_andn2_saveexec_b64 s[4:5], s[4:5]
	s_cbranch_execz .LBB0_19
; %bb.18:
	v_mov_b32_e32 v4, 0
	ds_read_b32 v7, v4 offset:4860
	s_mov_b32 s8, 0xc0004000
	s_waitcnt lgkmcnt(0)
	v_pk_mul_f16 v12, v7, s8
	v_mov_b32_e32 v7, 0
	v_mov_b32_e32 v8, 0
	ds_write_b32 v4, v12 offset:4860
.LBB0_19:
	s_or_b64 exec, exec, s[4:5]
	v_lshlrev_b64 v[7:8], 2, v[7:8]
	v_mov_b32_e32 v4, s7
	v_add_co_u32_e32 v7, vcc, s6, v7
	v_addc_co_u32_e32 v8, vcc, v4, v8, vcc
	global_load_dword v4, v[7:8], off offset:324
	global_load_dword v12, v[7:8], off offset:648
	;; [unrolled: 1-line block ×4, first 2 shown]
	s_mov_b32 s4, 0x5040100
	v_perm_b32 v10, v11, v10, s4
	ds_write_b32 v0, v10
	ds_read_b32 v10, v0 offset:324
	ds_read_b32 v11, v9 offset:9396
	global_load_dword v15, v[7:8], off offset:1620
	global_load_dword v16, v[7:8], off offset:1944
	;; [unrolled: 1-line block ×4, first 2 shown]
	s_movk_i32 s4, 0x1000
	s_movk_i32 s5, 0x3b9c
	s_mov_b32 s8, 0xbb9c
	s_waitcnt lgkmcnt(0)
	v_add_f16_e32 v19, v10, v11
	v_add_f16_sdwa v20, v11, v10 dst_sel:DWORD dst_unused:UNUSED_PAD src0_sel:WORD_1 src1_sel:WORD_1
	v_sub_f16_e32 v21, v10, v11
	v_sub_f16_sdwa v10, v10, v11 dst_sel:DWORD dst_unused:UNUSED_PAD src0_sel:WORD_1 src1_sel:WORD_1
	s_movk_i32 s6, 0x34f2
	s_mov_b32 s7, 0xb8b4
	s_movk_i32 s9, 0x3a79
	v_add_u32_e32 v26, 0x1800, v0
	s_waitcnt vmcnt(7)
	v_lshrrev_b32_e32 v11, 16, v4
	v_fma_f16 v22, v21, v11, v19
	v_fma_f16 v23, v20, v11, v10
	v_fma_f16 v19, -v21, v11, v19
	v_fma_f16 v10, v20, v11, -v10
	v_fma_f16 v11, -v4, v20, v22
	v_fma_f16 v22, v21, v4, v23
	v_fma_f16 v19, v4, v20, v19
	;; [unrolled: 1-line block ×3, first 2 shown]
	v_pack_b32_f16 v10, v11, v22
	v_pack_b32_f16 v4, v19, v4
	ds_write_b32 v0, v10 offset:324
	ds_write_b32 v9, v4 offset:9396
	ds_read_b32 v4, v0 offset:648
	ds_read_b32 v10, v9 offset:9072
	s_waitcnt vmcnt(6)
	v_lshrrev_b32_e32 v11, 16, v12
	s_waitcnt lgkmcnt(0)
	v_add_f16_e32 v19, v4, v10
	v_add_f16_sdwa v20, v10, v4 dst_sel:DWORD dst_unused:UNUSED_PAD src0_sel:WORD_1 src1_sel:WORD_1
	v_sub_f16_e32 v21, v4, v10
	v_sub_f16_sdwa v4, v4, v10 dst_sel:DWORD dst_unused:UNUSED_PAD src0_sel:WORD_1 src1_sel:WORD_1
	v_fma_f16 v10, v21, v11, v19
	v_fma_f16 v22, v20, v11, v4
	v_fma_f16 v19, -v21, v11, v19
	v_fma_f16 v4, v20, v11, -v4
	v_fma_f16 v10, -v12, v20, v10
	v_fma_f16 v11, v21, v12, v22
	v_fma_f16 v19, v12, v20, v19
	;; [unrolled: 1-line block ×3, first 2 shown]
	v_pack_b32_f16 v10, v10, v11
	v_pack_b32_f16 v4, v19, v4
	ds_write_b32 v0, v10 offset:648
	ds_write_b32 v9, v4 offset:9072
	ds_read_b32 v4, v0 offset:972
	ds_read_b32 v10, v9 offset:8748
	s_waitcnt vmcnt(5)
	v_lshrrev_b32_e32 v11, 16, v13
	s_waitcnt lgkmcnt(0)
	v_add_f16_e32 v12, v4, v10
	v_add_f16_sdwa v19, v10, v4 dst_sel:DWORD dst_unused:UNUSED_PAD src0_sel:WORD_1 src1_sel:WORD_1
	v_sub_f16_e32 v20, v4, v10
	v_sub_f16_sdwa v4, v4, v10 dst_sel:DWORD dst_unused:UNUSED_PAD src0_sel:WORD_1 src1_sel:WORD_1
	v_fma_f16 v10, v20, v11, v12
	v_fma_f16 v21, v19, v11, v4
	v_fma_f16 v12, -v20, v11, v12
	v_fma_f16 v4, v19, v11, -v4
	v_fma_f16 v10, -v13, v19, v10
	v_fma_f16 v11, v20, v13, v21
	v_fma_f16 v12, v13, v19, v12
	;; [unrolled: 1-line block ×3, first 2 shown]
	v_pack_b32_f16 v10, v10, v11
	v_pack_b32_f16 v4, v12, v4
	ds_write_b32 v0, v10 offset:972
	ds_write_b32 v9, v4 offset:8748
	ds_read_b32 v4, v0 offset:1296
	ds_read_b32 v10, v9 offset:8424
	s_waitcnt vmcnt(4)
	v_lshrrev_b32_e32 v11, 16, v14
	v_add_u32_e32 v21, 0xc00, v0
	s_waitcnt lgkmcnt(0)
	v_add_f16_e32 v12, v4, v10
	v_add_f16_sdwa v13, v10, v4 dst_sel:DWORD dst_unused:UNUSED_PAD src0_sel:WORD_1 src1_sel:WORD_1
	v_sub_f16_e32 v19, v4, v10
	v_sub_f16_sdwa v4, v4, v10 dst_sel:DWORD dst_unused:UNUSED_PAD src0_sel:WORD_1 src1_sel:WORD_1
	v_fma_f16 v10, v19, v11, v12
	v_fma_f16 v20, v13, v11, v4
	v_fma_f16 v12, -v19, v11, v12
	v_fma_f16 v4, v13, v11, -v4
	v_fma_f16 v10, -v14, v13, v10
	v_fma_f16 v11, v19, v14, v20
	v_fma_f16 v12, v14, v13, v12
	;; [unrolled: 1-line block ×3, first 2 shown]
	v_pack_b32_f16 v10, v10, v11
	v_pack_b32_f16 v4, v12, v4
	ds_write_b32 v0, v10 offset:1296
	ds_write_b32 v9, v4 offset:8424
	ds_read_b32 v4, v0 offset:1620
	ds_read_b32 v10, v9 offset:8100
	s_waitcnt vmcnt(3)
	v_lshrrev_b32_e32 v11, 16, v15
	v_add_u32_e32 v20, 0x1a00, v0
	s_waitcnt lgkmcnt(0)
	v_add_f16_e32 v12, v4, v10
	v_add_f16_sdwa v13, v10, v4 dst_sel:DWORD dst_unused:UNUSED_PAD src0_sel:WORD_1 src1_sel:WORD_1
	v_sub_f16_e32 v14, v4, v10
	v_sub_f16_sdwa v4, v4, v10 dst_sel:DWORD dst_unused:UNUSED_PAD src0_sel:WORD_1 src1_sel:WORD_1
	v_fma_f16 v10, v14, v11, v12
	v_fma_f16 v19, v13, v11, v4
	v_fma_f16 v12, -v14, v11, v12
	v_fma_f16 v4, v13, v11, -v4
	v_fma_f16 v10, -v15, v13, v10
	v_fma_f16 v11, v14, v15, v19
	v_fma_f16 v12, v15, v13, v12
	v_fma_f16 v4, v14, v15, v4
	v_pack_b32_f16 v10, v10, v11
	v_pack_b32_f16 v4, v12, v4
	ds_write_b32 v0, v10 offset:1620
	ds_write_b32 v9, v4 offset:8100
	ds_read_b32 v4, v0 offset:1944
	ds_read_b32 v10, v9 offset:7776
	global_load_dword v11, v[7:8], off offset:2916
	s_waitcnt vmcnt(3)
	v_lshrrev_b32_e32 v12, 16, v16
	s_waitcnt lgkmcnt(0)
	v_add_f16_e32 v13, v4, v10
	v_add_f16_sdwa v14, v10, v4 dst_sel:DWORD dst_unused:UNUSED_PAD src0_sel:WORD_1 src1_sel:WORD_1
	v_sub_f16_e32 v15, v4, v10
	v_sub_f16_sdwa v4, v4, v10 dst_sel:DWORD dst_unused:UNUSED_PAD src0_sel:WORD_1 src1_sel:WORD_1
	v_fma_f16 v10, v15, v12, v13
	v_fma_f16 v19, v14, v12, v4
	v_fma_f16 v13, -v15, v12, v13
	v_fma_f16 v4, v14, v12, -v4
	v_fma_f16 v10, -v16, v14, v10
	v_fma_f16 v12, v15, v16, v19
	v_fma_f16 v13, v16, v14, v13
	;; [unrolled: 1-line block ×3, first 2 shown]
	v_pack_b32_f16 v10, v10, v12
	v_pack_b32_f16 v4, v13, v4
	ds_write_b32 v0, v10 offset:1944
	ds_write_b32 v9, v4 offset:7776
	ds_read_b32 v4, v0 offset:2268
	ds_read_b32 v10, v9 offset:7452
	global_load_dword v12, v[7:8], off offset:3240
	s_waitcnt vmcnt(3)
	v_lshrrev_b32_e32 v13, 16, v17
	s_waitcnt lgkmcnt(0)
	v_add_f16_e32 v14, v4, v10
	v_add_f16_sdwa v15, v10, v4 dst_sel:DWORD dst_unused:UNUSED_PAD src0_sel:WORD_1 src1_sel:WORD_1
	v_sub_f16_e32 v16, v4, v10
	v_sub_f16_sdwa v4, v4, v10 dst_sel:DWORD dst_unused:UNUSED_PAD src0_sel:WORD_1 src1_sel:WORD_1
	v_fma_f16 v10, v16, v13, v14
	v_fma_f16 v19, v15, v13, v4
	v_fma_f16 v14, -v16, v13, v14
	v_fma_f16 v4, v15, v13, -v4
	v_fma_f16 v10, -v17, v15, v10
	v_fma_f16 v13, v16, v17, v19
	v_fma_f16 v14, v17, v15, v14
	;; [unrolled: 1-line block ×3, first 2 shown]
	v_pack_b32_f16 v10, v10, v13
	v_pack_b32_f16 v4, v14, v4
	ds_write_b32 v0, v10 offset:2268
	ds_write_b32 v9, v4 offset:7452
	ds_read_b32 v4, v0 offset:2592
	ds_read_b32 v10, v9 offset:7128
	global_load_dword v13, v[7:8], off offset:3564
	s_waitcnt lgkmcnt(0)
	v_add_f16_e32 v14, v4, v10
	v_add_f16_sdwa v15, v10, v4 dst_sel:DWORD dst_unused:UNUSED_PAD src0_sel:WORD_1 src1_sel:WORD_1
	v_sub_f16_e32 v16, v4, v10
	v_sub_f16_sdwa v4, v4, v10 dst_sel:DWORD dst_unused:UNUSED_PAD src0_sel:WORD_1 src1_sel:WORD_1
	s_waitcnt vmcnt(3)
	v_lshrrev_b32_e32 v10, 16, v18
	v_fma_f16 v17, v16, v10, v14
	v_fma_f16 v19, v15, v10, v4
	v_fma_f16 v14, -v16, v10, v14
	v_fma_f16 v4, v15, v10, -v4
	v_fma_f16 v17, -v18, v15, v17
	v_fma_f16 v19, v16, v18, v19
	v_fma_f16 v14, v18, v15, v14
	;; [unrolled: 1-line block ×3, first 2 shown]
	v_pack_b32_f16 v17, v17, v19
	v_pack_b32_f16 v4, v14, v4
	ds_write_b32 v0, v17 offset:2592
	ds_write_b32 v9, v4 offset:7128
	ds_read_b32 v4, v0 offset:2916
	ds_read_b32 v10, v9 offset:6804
	global_load_dword v14, v[7:8], off offset:3888
	v_add_co_u32_e32 v7, vcc, s4, v7
	v_addc_co_u32_e32 v8, vcc, 0, v8, vcc
	s_waitcnt lgkmcnt(0)
	v_add_f16_e32 v15, v4, v10
	v_add_f16_sdwa v16, v10, v4 dst_sel:DWORD dst_unused:UNUSED_PAD src0_sel:WORD_1 src1_sel:WORD_1
	v_sub_f16_e32 v17, v4, v10
	v_sub_f16_sdwa v4, v4, v10 dst_sel:DWORD dst_unused:UNUSED_PAD src0_sel:WORD_1 src1_sel:WORD_1
	global_load_dword v10, v[7:8], off offset:116
	global_load_dword v18, v[7:8], off offset:440
	s_movk_i32 s4, 0x38b4
	s_waitcnt vmcnt(5)
	v_lshrrev_b32_e32 v7, 16, v11
	v_fma_f16 v8, v17, v7, v15
	v_fma_f16 v19, v16, v7, v4
	v_fma_f16 v8, -v11, v16, v8
	v_fma_f16 v19, v17, v11, v19
	v_pack_b32_f16 v8, v8, v19
	ds_write_b32 v0, v8 offset:2916
	v_fma_f16 v8, -v17, v7, v15
	v_fma_f16 v4, v16, v7, -v4
	v_fma_f16 v8, v11, v16, v8
	v_fma_f16 v4, v17, v11, v4
	v_pack_b32_f16 v4, v8, v4
	ds_write_b32 v9, v4 offset:6804
	ds_read_b32 v4, v0 offset:3240
	ds_read_b32 v7, v9 offset:6480
	v_add_u32_e32 v19, 0x1400, v0
	s_waitcnt lgkmcnt(0)
	v_add_f16_e32 v8, v4, v7
	v_add_f16_sdwa v11, v7, v4 dst_sel:DWORD dst_unused:UNUSED_PAD src0_sel:WORD_1 src1_sel:WORD_1
	v_sub_f16_e32 v15, v4, v7
	v_sub_f16_sdwa v4, v4, v7 dst_sel:DWORD dst_unused:UNUSED_PAD src0_sel:WORD_1 src1_sel:WORD_1
	s_waitcnt vmcnt(4)
	v_lshrrev_b32_e32 v7, 16, v12
	v_fma_f16 v16, v15, v7, v8
	v_fma_f16 v17, v11, v7, v4
	v_fma_f16 v8, -v15, v7, v8
	v_fma_f16 v4, v11, v7, -v4
	v_fma_f16 v16, -v12, v11, v16
	v_fma_f16 v17, v15, v12, v17
	v_fma_f16 v8, v12, v11, v8
	v_fma_f16 v4, v15, v12, v4
	v_pack_b32_f16 v16, v16, v17
	v_pack_b32_f16 v4, v8, v4
	ds_write_b32 v0, v16 offset:3240
	ds_write_b32 v9, v4 offset:6480
	ds_read_b32 v4, v0 offset:3564
	ds_read_b32 v7, v9 offset:6156
	v_add_u32_e32 v17, 0xe00, v0
	s_waitcnt lgkmcnt(0)
	v_add_f16_e32 v8, v4, v7
	v_add_f16_sdwa v11, v7, v4 dst_sel:DWORD dst_unused:UNUSED_PAD src0_sel:WORD_1 src1_sel:WORD_1
	v_sub_f16_e32 v12, v4, v7
	v_sub_f16_sdwa v4, v4, v7 dst_sel:DWORD dst_unused:UNUSED_PAD src0_sel:WORD_1 src1_sel:WORD_1
	s_waitcnt vmcnt(3)
	v_lshrrev_b32_e32 v7, 16, v13
	v_fma_f16 v15, v12, v7, v8
	v_fma_f16 v16, v11, v7, v4
	v_fma_f16 v8, -v12, v7, v8
	v_fma_f16 v4, v11, v7, -v4
	v_fma_f16 v15, -v13, v11, v15
	v_fma_f16 v16, v12, v13, v16
	v_fma_f16 v8, v13, v11, v8
	v_fma_f16 v4, v12, v13, v4
	v_pack_b32_f16 v15, v15, v16
	v_pack_b32_f16 v4, v8, v4
	ds_write_b32 v0, v15 offset:3564
	;; [unrolled: 22-line block ×4, first 2 shown]
	ds_write_b32 v9, v4 offset:5508
	ds_read_b32 v4, v0 offset:4536
	ds_read_b32 v7, v9 offset:5184
	s_waitcnt lgkmcnt(0)
	v_add_f16_e32 v8, v4, v7
	v_add_f16_sdwa v10, v7, v4 dst_sel:DWORD dst_unused:UNUSED_PAD src0_sel:WORD_1 src1_sel:WORD_1
	v_sub_f16_e32 v11, v4, v7
	v_sub_f16_sdwa v4, v4, v7 dst_sel:DWORD dst_unused:UNUSED_PAD src0_sel:WORD_1 src1_sel:WORD_1
	s_waitcnt vmcnt(0)
	v_lshrrev_b32_e32 v7, 16, v18
	v_fma_f16 v12, v11, v7, v8
	v_fma_f16 v13, v10, v7, v4
	v_fma_f16 v8, -v11, v7, v8
	v_fma_f16 v4, v10, v7, -v4
	v_fma_f16 v12, -v18, v10, v12
	v_fma_f16 v13, v11, v18, v13
	v_fma_f16 v8, v18, v10, v8
	;; [unrolled: 1-line block ×3, first 2 shown]
	v_pack_b32_f16 v12, v12, v13
	v_pack_b32_f16 v4, v8, v4
	ds_write_b32 v0, v12 offset:4536
	ds_write_b32 v9, v4 offset:5184
	v_add_u32_e32 v4, 0x1600, v0
	s_waitcnt lgkmcnt(0)
	s_barrier
	s_barrier
	ds_read2_b32 v[7:8], v15 offset0:102 offset1:183
	ds_read2_b32 v[11:12], v17 offset0:76 offset1:157
	;; [unrolled: 1-line block ×4, first 2 shown]
	v_add_u32_e32 v18, 0x2200, v0
	ds_read2_b32 v[27:28], v21 offset0:42 offset1:123
	ds_read2_b32 v[29:30], v20 offset0:118 offset1:199
	;; [unrolled: 1-line block ×4, first 2 shown]
	s_waitcnt lgkmcnt(4)
	v_sub_f16_e32 v22, v14, v10
	v_sub_f16_e32 v23, v8, v12
	v_add_f16_e32 v49, v23, v22
	v_sub_f16_sdwa v22, v8, v12 dst_sel:DWORD dst_unused:UNUSED_PAD src0_sel:WORD_1 src1_sel:WORD_1
	v_sub_f16_sdwa v23, v14, v10 dst_sel:DWORD dst_unused:UNUSED_PAD src0_sel:WORD_1 src1_sel:WORD_1
	v_add_f16_e32 v50, v22, v23
	s_waitcnt lgkmcnt(1)
	v_sub_f16_e32 v22, v31, v29
	s_waitcnt lgkmcnt(0)
	v_sub_f16_e32 v23, v27, v33
	v_add_f16_e32 v51, v23, v22
	v_sub_f16_sdwa v22, v27, v33 dst_sel:DWORD dst_unused:UNUSED_PAD src0_sel:WORD_1 src1_sel:WORD_1
	v_sub_f16_sdwa v23, v31, v29 dst_sel:DWORD dst_unused:UNUSED_PAD src0_sel:WORD_1 src1_sel:WORD_1
	v_add_f16_e32 v52, v22, v23
	v_add_u32_e32 v22, 0x400, v0
	ds_read2_b32 v[35:36], v22 offset0:68 offset1:149
	v_add_f16_e32 v23, v33, v29
	v_sub_f16_sdwa v54, v27, v31 dst_sel:DWORD dst_unused:UNUSED_PAD src0_sel:WORD_1 src1_sel:WORD_1
	v_add_f16_sdwa v24, v33, v29 dst_sel:DWORD dst_unused:UNUSED_PAD src0_sel:WORD_1 src1_sel:WORD_1
	v_sub_f16_sdwa v55, v33, v29 dst_sel:DWORD dst_unused:UNUSED_PAD src0_sel:WORD_1 src1_sel:WORD_1
	s_waitcnt lgkmcnt(0)
	v_fma_f16 v53, v23, -0.5, v35
	v_lshrrev_b32_e32 v56, 16, v35
	v_fma_f16 v23, v54, s5, v53
	v_fma_f16 v57, v24, -0.5, v56
	v_sub_f16_e32 v58, v27, v31
	ds_read2_b32 v[37:38], v0 offset1:81
	v_fma_f16 v23, v55, s4, v23
	v_fma_f16 v24, v58, s8, v57
	v_sub_f16_e32 v59, v33, v29
	v_fma_f16 v23, v51, s6, v23
	v_fma_f16 v24, v59, s7, v24
	;; [unrolled: 1-line block ×3, first 2 shown]
	v_mul_f16_e32 v25, 0x3a79, v23
	v_mul_f16_e32 v23, 0xb8b4, v23
	v_fma_f16 v61, v24, s9, v23
	v_add_f16_e32 v23, v12, v10
	s_waitcnt lgkmcnt(0)
	v_fma_f16 v62, v23, -0.5, v38
	v_sub_f16_sdwa v63, v8, v14 dst_sel:DWORD dst_unused:UNUSED_PAD src0_sel:WORD_1 src1_sel:WORD_1
	v_fma_f16 v23, v63, s5, v62
	v_sub_f16_sdwa v64, v12, v10 dst_sel:DWORD dst_unused:UNUSED_PAD src0_sel:WORD_1 src1_sel:WORD_1
	v_fma_f16 v23, v64, s4, v23
	v_fma_f16 v65, v49, s6, v23
	v_add_f16_sdwa v23, v12, v10 dst_sel:DWORD dst_unused:UNUSED_PAD src0_sel:WORD_1 src1_sel:WORD_1
	v_lshrrev_b32_e32 v66, 16, v38
	v_fma_f16 v67, v23, -0.5, v66
	v_sub_f16_e32 v68, v8, v14
	v_fma_f16 v23, v68, s8, v67
	v_sub_f16_e32 v69, v12, v10
	v_fma_f16 v23, v69, s7, v23
	v_fma_f16 v60, v24, s4, v25
	;; [unrolled: 1-line block ×3, first 2 shown]
	v_add_f16_e32 v23, v65, v60
	v_add_f16_e32 v24, v70, v61
	v_pack_b32_f16 v71, v23, v24
	v_mul_u32_u24_e32 v23, 10, v3
	v_lshl_add_u32 v72, v23, 2, 0
	v_pk_add_f16 v23, v38, v8
	v_pk_add_f16 v23, v23, v12
	;; [unrolled: 1-line block ×8, first 2 shown]
	v_add_u32_e32 v75, 0xca8, v72
	v_pk_add_f16 v76, v73, v74
	v_add_u32_e32 v23, 0x800, v0
	v_add_u32_e32 v25, 0x1000, v0
	;; [unrolled: 1-line block ×3, first 2 shown]
	ds_read2_b32 v[39:40], v0 offset0:162 offset1:243
	ds_read2_b32 v[41:42], v23 offset0:136 offset1:217
	;; [unrolled: 1-line block ×5, first 2 shown]
	s_waitcnt lgkmcnt(0)
	s_barrier
	ds_write2_b32 v75, v76, v71 offset1:1
	v_sub_f16_e32 v71, v10, v14
	v_sub_f16_e32 v75, v12, v8
	v_add_f16_e32 v71, v75, v71
	v_add_f16_e32 v75, v8, v14
	v_fma_f16 v38, v75, -0.5, v38
	v_fma_f16 v75, v64, s8, v38
	v_fma_f16 v38, v64, s5, v38
	;; [unrolled: 1-line block ×6, first 2 shown]
	v_add_f16_sdwa v71, v8, v14 dst_sel:DWORD dst_unused:UNUSED_PAD src0_sel:WORD_1 src1_sel:WORD_1
	v_fma_f16 v66, v71, -0.5, v66
	v_sub_f16_sdwa v8, v12, v8 dst_sel:DWORD dst_unused:UNUSED_PAD src0_sel:WORD_1 src1_sel:WORD_1
	v_sub_f16_sdwa v10, v10, v14 dst_sel:DWORD dst_unused:UNUSED_PAD src0_sel:WORD_1 src1_sel:WORD_1
	v_add_f16_e32 v8, v8, v10
	v_fma_f16 v10, v69, s5, v66
	v_fma_f16 v12, v69, s8, v66
	;; [unrolled: 1-line block ×6, first 2 shown]
	v_sub_f16_e32 v12, v29, v31
	v_sub_f16_e32 v14, v33, v27
	v_add_f16_e32 v12, v14, v12
	v_add_f16_e32 v14, v27, v31
	v_fma_f16 v14, v14, -0.5, v35
	v_fma_f16 v35, v55, s8, v14
	v_fma_f16 v14, v55, s5, v14
	;; [unrolled: 1-line block ×6, first 2 shown]
	v_add_f16_sdwa v14, v27, v31 dst_sel:DWORD dst_unused:UNUSED_PAD src0_sel:WORD_1 src1_sel:WORD_1
	v_fma_f16 v14, v14, -0.5, v56
	v_sub_f16_sdwa v27, v33, v27 dst_sel:DWORD dst_unused:UNUSED_PAD src0_sel:WORD_1 src1_sel:WORD_1
	v_sub_f16_sdwa v29, v29, v31 dst_sel:DWORD dst_unused:UNUSED_PAD src0_sel:WORD_1 src1_sel:WORD_1
	v_add_f16_e32 v27, v27, v29
	v_fma_f16 v29, v59, s5, v14
	v_fma_f16 v29, v58, s7, v29
	;; [unrolled: 1-line block ×5, first 2 shown]
	v_mul_f16_e32 v31, 0xbb9c, v35
	v_fma_f16 v14, v27, s6, v14
	v_mul_f16_e32 v27, 0x3b9c, v29
	v_fma_f16 v29, v29, s6, v31
	v_mul_f16_e32 v31, 0x34f2, v12
	v_fma_f16 v31, v14, s5, -v31
	v_mul_f16_e32 v14, 0x34f2, v14
	v_fma_f16 v12, v12, s8, -v14
	v_fma_f16 v27, v35, s6, v27
	v_add_f16_e32 v14, v38, v31
	v_add_f16_e32 v33, v8, v12
	v_pack_b32_f16 v14, v14, v33
	v_add_f16_e32 v33, v75, v27
	v_add_f16_e32 v35, v10, v29
	v_pack_b32_f16 v33, v33, v35
	v_add_u32_e32 v35, 0xcb0, v72
	ds_write2_b32 v35, v33, v14 offset1:1
	v_fma_f16 v14, v63, s8, v62
	v_fma_f16 v14, v64, s7, v14
	;; [unrolled: 1-line block ×12, first 2 shown]
	v_mul_f16_e32 v50, 0x3a79, v35
	v_fma_f16 v50, v49, s4, -v50
	v_mul_f16_e32 v49, 0x3a79, v49
	v_fma_f16 v35, v35, s7, -v49
	v_add_f16_e32 v51, v14, v50
	v_add_f16_e32 v52, v33, v35
	v_pk_add_f16 v49, v73, v74 neg_lo:[0,1] neg_hi:[0,1]
	v_pack_b32_f16 v51, v51, v52
	v_add_u32_e32 v52, 0xcb8, v72
	ds_write2_b32 v52, v51, v49 offset1:1
	v_sub_f16_e32 v49, v65, v60
	v_sub_f16_e32 v27, v75, v27
	;; [unrolled: 1-line block ×4, first 2 shown]
	v_pack_b32_f16 v29, v49, v51
	v_pack_b32_f16 v10, v27, v10
	v_add_u32_e32 v27, 0xcc0, v72
	ds_write2_b32 v27, v29, v10 offset1:1
	v_sub_f16_e32 v10, v38, v31
	v_sub_f16_e32 v14, v14, v50
	;; [unrolled: 1-line block ×4, first 2 shown]
	v_pack_b32_f16 v12, v14, v12
	v_pack_b32_f16 v8, v10, v8
	v_add_u32_e32 v10, 0xcc8, v72
	ds_write2_b32 v10, v8, v12 offset1:1
	v_pk_add_f16 v8, v36, v28
	v_pk_add_f16 v8, v8, v34
	v_add_f16_e32 v10, v34, v30
	v_sub_f16_sdwa v33, v28, v34 dst_sel:DWORD dst_unused:UNUSED_PAD src0_sel:WORD_1 src1_sel:WORD_1
	v_pk_add_f16 v8, v8, v30
	v_sub_f16_sdwa v52, v32, v30 dst_sel:DWORD dst_unused:UNUSED_PAD src0_sel:WORD_1 src1_sel:WORD_1
	v_sub_f16_sdwa v12, v34, v30 dst_sel:DWORD dst_unused:UNUSED_PAD src0_sel:WORD_1 src1_sel:WORD_1
	v_sub_f16_e32 v14, v28, v34
	v_sub_f16_e32 v27, v34, v28
	v_add_f16_sdwa v29, v34, v30 dst_sel:DWORD dst_unused:UNUSED_PAD src0_sel:WORD_1 src1_sel:WORD_1
	v_sub_f16_e32 v31, v34, v30
	v_sub_f16_sdwa v34, v34, v28 dst_sel:DWORD dst_unused:UNUSED_PAD src0_sel:WORD_1 src1_sel:WORD_1
	v_sub_f16_sdwa v35, v28, v32 dst_sel:DWORD dst_unused:UNUSED_PAD src0_sel:WORD_1 src1_sel:WORD_1
	v_add_f16_e32 v38, v28, v32
	v_sub_f16_e32 v49, v28, v32
	v_add_f16_sdwa v28, v28, v32 dst_sel:DWORD dst_unused:UNUSED_PAD src0_sel:WORD_1 src1_sel:WORD_1
	v_sub_f16_e32 v50, v32, v30
	v_sub_f16_e32 v51, v30, v32
	v_sub_f16_sdwa v30, v30, v32 dst_sel:DWORD dst_unused:UNUSED_PAD src0_sel:WORD_1 src1_sel:WORD_1
	v_pk_add_f16 v8, v8, v32
	v_sub_f16_e32 v32, v47, v45
	v_sub_f16_e32 v53, v41, v43
	v_add_f16_e32 v33, v33, v52
	v_fma_f16 v10, v10, -0.5, v36
	v_lshrrev_b32_e32 v52, 16, v36
	v_add_f16_e32 v32, v53, v32
	v_sub_f16_sdwa v53, v41, v43 dst_sel:DWORD dst_unused:UNUSED_PAD src0_sel:WORD_1 src1_sel:WORD_1
	v_sub_f16_sdwa v54, v47, v45 dst_sel:DWORD dst_unused:UNUSED_PAD src0_sel:WORD_1 src1_sel:WORD_1
	v_add_f16_e32 v14, v14, v50
	v_fma_f16 v50, v35, s5, v10
	v_fma_f16 v29, v29, -0.5, v52
	v_add_f16_e32 v53, v53, v54
	v_fma_f16 v50, v12, s4, v50
	v_fma_f16 v54, v49, s8, v29
	;; [unrolled: 1-line block ×5, first 2 shown]
	v_mul_f16_e32 v55, 0x3a79, v50
	v_mul_f16_e32 v50, 0xb8b4, v50
	v_fma_f16 v55, v54, s4, v55
	v_fma_f16 v50, v54, s9, v50
	v_add_f16_e32 v54, v43, v45
	v_add_f16_sdwa v59, v43, v45 dst_sel:DWORD dst_unused:UNUSED_PAD src0_sel:WORD_1 src1_sel:WORD_1
	v_lshrrev_b32_e32 v60, 16, v39
	v_fma_f16 v54, v54, -0.5, v39
	v_sub_f16_sdwa v56, v41, v47 dst_sel:DWORD dst_unused:UNUSED_PAD src0_sel:WORD_1 src1_sel:WORD_1
	v_fma_f16 v59, v59, -0.5, v60
	v_sub_f16_e32 v61, v41, v47
	v_fma_f16 v57, v56, s5, v54
	v_sub_f16_sdwa v58, v43, v45 dst_sel:DWORD dst_unused:UNUSED_PAD src0_sel:WORD_1 src1_sel:WORD_1
	v_fma_f16 v62, v61, s8, v59
	v_sub_f16_e32 v63, v43, v45
	v_fma_f16 v57, v58, s4, v57
	v_fma_f16 v62, v63, s7, v62
	;; [unrolled: 1-line block ×4, first 2 shown]
	v_add_f16_e32 v64, v57, v55
	v_add_f16_e32 v65, v62, v50
	v_pack_b32_f16 v64, v64, v65
	v_pk_add_f16 v65, v39, v41
	v_pk_add_f16 v65, v65, v43
	;; [unrolled: 1-line block ×4, first 2 shown]
	v_add_u32_e32 v66, 0x1950, v72
	v_pk_add_f16 v67, v65, v8
	ds_write2_b32 v66, v67, v64 offset1:1
	v_fma_f16 v36, v38, -0.5, v36
	v_sub_f16_e32 v38, v45, v47
	v_sub_f16_e32 v64, v43, v41
	v_add_f16_e32 v38, v64, v38
	v_add_f16_e32 v64, v41, v47
	v_fma_f16 v39, v64, -0.5, v39
	v_fma_f16 v64, v58, s8, v39
	v_fma_f16 v39, v58, s5, v39
	;; [unrolled: 1-line block ×6, first 2 shown]
	v_add_f16_sdwa v39, v41, v47 dst_sel:DWORD dst_unused:UNUSED_PAD src0_sel:WORD_1 src1_sel:WORD_1
	v_fma_f16 v39, v39, -0.5, v60
	v_sub_f16_sdwa v41, v43, v41 dst_sel:DWORD dst_unused:UNUSED_PAD src0_sel:WORD_1 src1_sel:WORD_1
	v_sub_f16_sdwa v43, v45, v47 dst_sel:DWORD dst_unused:UNUSED_PAD src0_sel:WORD_1 src1_sel:WORD_1
	v_add_f16_e32 v41, v41, v43
	v_fma_f16 v43, v63, s5, v39
	v_fma_f16 v39, v63, s8, v39
	;; [unrolled: 1-line block ×7, first 2 shown]
	v_fma_f16 v28, v28, -0.5, v52
	v_add_f16_e32 v27, v27, v51
	v_fma_f16 v41, v35, s4, v41
	v_fma_f16 v36, v12, s5, v36
	v_add_f16_e32 v30, v34, v30
	v_fma_f16 v34, v31, s5, v28
	v_fma_f16 v41, v27, s6, v41
	;; [unrolled: 1-line block ×8, first 2 shown]
	v_mul_f16_e32 v36, 0xbb9c, v41
	v_fma_f16 v28, v30, s6, v28
	v_mul_f16_e32 v30, 0x3b9c, v34
	v_fma_f16 v34, v34, s6, v36
	v_mul_f16_e32 v36, 0x34f2, v27
	v_fma_f16 v36, v28, s5, -v36
	v_mul_f16_e32 v28, 0x34f2, v28
	v_fma_f16 v27, v27, s8, -v28
	v_fma_f16 v30, v41, s6, v30
	v_add_f16_e32 v28, v38, v36
	v_add_f16_e32 v41, v39, v27
	v_pack_b32_f16 v28, v28, v41
	v_add_f16_e32 v41, v64, v30
	v_add_f16_e32 v45, v43, v34
	v_pack_b32_f16 v41, v41, v45
	v_add_u32_e32 v45, 0x1958, v72
	v_fma_f16 v10, v35, s8, v10
	ds_write2_b32 v45, v41, v28 offset1:1
	v_fma_f16 v28, v56, s8, v54
	v_fma_f16 v10, v12, s7, v10
	;; [unrolled: 1-line block ×9, first 2 shown]
	v_mul_f16_e32 v14, 0x3a79, v10
	v_fma_f16 v32, v63, s4, v32
	v_fma_f16 v14, v12, s4, -v14
	v_mul_f16_e32 v12, 0x3a79, v12
	v_fma_f16 v32, v53, s6, v32
	v_fma_f16 v10, v10, s7, -v12
	v_add_f16_e32 v12, v28, v14
	v_add_f16_e32 v29, v32, v10
	v_pk_add_f16 v8, v65, v8 neg_lo:[0,1] neg_hi:[0,1]
	v_pack_b32_f16 v12, v12, v29
	v_add_u32_e32 v29, 0x1960, v72
	ds_write2_b32 v29, v12, v8 offset1:1
	v_pk_add_f16 v8, v37, v7
	v_pk_add_f16 v8, v8, v11
	v_pk_add_f16 v8, v8, v9
	v_add_f16_e32 v12, v11, v9
	v_sub_f16_sdwa v29, v11, v9 dst_sel:DWORD dst_unused:UNUSED_PAD src0_sel:WORD_1 src1_sel:WORD_1
	v_sub_f16_e32 v31, v7, v11
	v_sub_f16_e32 v33, v11, v7
	v_add_f16_sdwa v35, v11, v9 dst_sel:DWORD dst_unused:UNUSED_PAD src0_sel:WORD_1 src1_sel:WORD_1
	v_sub_f16_e32 v41, v11, v9
	v_sub_f16_sdwa v45, v7, v11 dst_sel:DWORD dst_unused:UNUSED_PAD src0_sel:WORD_1 src1_sel:WORD_1
	v_sub_f16_sdwa v11, v11, v7 dst_sel:DWORD dst_unused:UNUSED_PAD src0_sel:WORD_1 src1_sel:WORD_1
	;; [unrolled: 1-line block ×3, first 2 shown]
	v_add_f16_e32 v49, v7, v13
	v_sub_f16_e32 v51, v7, v13
	v_add_f16_sdwa v7, v7, v13 dst_sel:DWORD dst_unused:UNUSED_PAD src0_sel:WORD_1 src1_sel:WORD_1
	v_sub_f16_e32 v52, v13, v9
	v_sub_f16_e32 v53, v9, v13
	v_sub_f16_sdwa v54, v13, v9 dst_sel:DWORD dst_unused:UNUSED_PAD src0_sel:WORD_1 src1_sel:WORD_1
	v_sub_f16_sdwa v9, v9, v13 dst_sel:DWORD dst_unused:UNUSED_PAD src0_sel:WORD_1 src1_sel:WORD_1
	v_pk_add_f16 v8, v8, v13
	v_pk_add_f16 v13, v40, v42
	;; [unrolled: 1-line block ×3, first 2 shown]
	v_add_f16_e32 v56, v44, v46
	v_add_f16_e32 v67, v42, v48
	v_pk_add_f16 v13, v13, v46
	v_sub_f16_sdwa v58, v44, v46 dst_sel:DWORD dst_unused:UNUSED_PAD src0_sel:WORD_1 src1_sel:WORD_1
	v_sub_f16_e32 v59, v42, v44
	v_sub_f16_e32 v60, v44, v42
	v_add_f16_sdwa v61, v44, v46 dst_sel:DWORD dst_unused:UNUSED_PAD src0_sel:WORD_1 src1_sel:WORD_1
	v_sub_f16_e32 v63, v44, v46
	v_sub_f16_sdwa v65, v42, v44 dst_sel:DWORD dst_unused:UNUSED_PAD src0_sel:WORD_1 src1_sel:WORD_1
	v_sub_f16_sdwa v44, v44, v42 dst_sel:DWORD dst_unused:UNUSED_PAD src0_sel:WORD_1 src1_sel:WORD_1
	;; [unrolled: 1-line block ×3, first 2 shown]
	v_sub_f16_e32 v68, v42, v48
	v_add_f16_sdwa v42, v42, v48 dst_sel:DWORD dst_unused:UNUSED_PAD src0_sel:WORD_1 src1_sel:WORD_1
	v_sub_f16_e32 v69, v48, v46
	v_sub_f16_e32 v70, v46, v48
	v_sub_f16_sdwa v71, v48, v46 dst_sel:DWORD dst_unused:UNUSED_PAD src0_sel:WORD_1 src1_sel:WORD_1
	v_sub_f16_sdwa v46, v46, v48 dst_sel:DWORD dst_unused:UNUSED_PAD src0_sel:WORD_1 src1_sel:WORD_1
	v_pk_add_f16 v13, v13, v48
	v_add_f16_e32 v31, v31, v52
	v_fma_f16 v12, v12, -0.5, v37
	v_fma_f16 v48, v49, -0.5, v37
	v_lshrrev_b32_e32 v37, 16, v37
	v_add_f16_e32 v45, v45, v54
	v_fma_f16 v52, v56, -0.5, v40
	v_fma_f16 v54, v67, -0.5, v40
	v_lshrrev_b32_e32 v40, 16, v40
	v_fma_f16 v61, v61, -0.5, v40
	v_fma_f16 v7, v7, -0.5, v37
	;; [unrolled: 1-line block ×3, first 2 shown]
	v_add_f16_e32 v33, v33, v53
	v_fma_f16 v53, v29, s8, v48
	v_fma_f16 v48, v29, s5, v48
	v_add_f16_e32 v9, v11, v9
	v_fma_f16 v11, v41, s5, v7
	v_fma_f16 v7, v41, s8, v7
	v_add_f16_e32 v42, v44, v46
	v_fma_f16 v44, v63, s5, v40
	v_fma_f16 v35, v35, -0.5, v37
	v_fma_f16 v53, v47, s4, v53
	v_fma_f16 v48, v47, s7, v48
	;; [unrolled: 1-line block ×7, first 2 shown]
	v_add_f16_e32 v49, v59, v69
	v_fma_f16 v59, v66, s5, v52
	v_fma_f16 v53, v33, s6, v53
	;; [unrolled: 1-line block ×5, first 2 shown]
	v_add_f16_e32 v9, v60, v70
	v_fma_f16 v37, v66, s4, v37
	v_fma_f16 v48, v58, s5, v54
	;; [unrolled: 1-line block ×4, first 2 shown]
	v_add_f16_e32 v56, v65, v71
	v_fma_f16 v59, v58, s4, v59
	v_fma_f16 v65, v68, s8, v61
	;; [unrolled: 1-line block ×5, first 2 shown]
	v_mul_f16_e32 v42, 0x3b9c, v44
	v_fma_f16 v59, v49, s6, v59
	v_fma_f16 v65, v63, s7, v65
	;; [unrolled: 1-line block ×4, first 2 shown]
	v_mul_f16_e32 v37, 0xbb9c, v37
	v_fma_f16 v65, v56, s6, v65
	v_mul_f16_e32 v67, 0x3a79, v59
	v_mul_f16_e32 v59, 0xb8b4, v59
	v_fma_f16 v37, v44, s6, v37
	v_mul_f16_e32 v44, 0x34f2, v9
	v_fma_f16 v67, v65, s4, v67
	v_fma_f16 v59, v65, s9, v59
	;; [unrolled: 1-line block ×3, first 2 shown]
	v_fma_f16 v44, v40, s5, -v44
	v_mul_f16_e32 v40, 0x34f2, v40
	v_fma_f16 v12, v47, s8, v12
	v_fma_f16 v65, v29, s4, v65
	v_fma_f16 v9, v9, s8, -v40
	v_fma_f16 v12, v29, s7, v12
	v_fma_f16 v65, v31, s6, v65
	v_add_f16_e32 v40, v33, v44
	v_add_f16_e32 v46, v7, v9
	v_fma_f16 v12, v31, s6, v12
	v_fma_f16 v31, v66, s8, v52
	;; [unrolled: 1-line block ×3, first 2 shown]
	v_pack_b32_f16 v40, v40, v46
	v_add_f16_e32 v46, v53, v42
	v_add_f16_e32 v48, v11, v37
	v_fma_f16 v29, v51, s5, v35
	v_fma_f16 v31, v58, s7, v31
	v_fma_f16 v35, v68, s5, v61
	v_pack_b32_f16 v46, v46, v48
	v_fma_f16 v31, v49, s6, v31
	v_fma_f16 v35, v63, s4, v35
	;; [unrolled: 1-line block ×3, first 2 shown]
	ds_write2_b32 v72, v46, v40 offset0:2 offset1:3
	v_fma_f16 v35, v56, s6, v35
	v_mul_f16_e32 v40, 0x3a79, v31
	v_fma_f16 v69, v45, s6, v69
	v_fma_f16 v29, v41, s4, v29
	v_fma_f16 v40, v35, s4, -v40
	v_mul_f16_e32 v35, 0x3a79, v35
	v_add_f16_e32 v71, v65, v67
	v_add_f16_e32 v73, v69, v59
	v_fma_f16 v29, v45, s6, v29
	v_fma_f16 v31, v31, s7, -v35
	v_pack_b32_f16 v71, v71, v73
	v_pk_add_f16 v73, v8, v13
	v_pk_add_f16 v8, v8, v13 neg_lo:[0,1] neg_hi:[0,1]
	v_add_f16_e32 v13, v12, v40
	v_add_f16_e32 v35, v29, v31
	v_pack_b32_f16 v13, v13, v35
	ds_write2_b32 v72, v13, v8 offset0:4 offset1:5
	v_sub_f16_e32 v8, v65, v67
	v_sub_f16_e32 v13, v53, v42
	;; [unrolled: 1-line block ×4, first 2 shown]
	v_pack_b32_f16 v8, v8, v35
	v_pack_b32_f16 v11, v13, v11
	ds_write2_b32 v72, v8, v11 offset0:6 offset1:7
	v_sub_f16_e32 v8, v33, v44
	v_sub_f16_e32 v11, v12, v40
	;; [unrolled: 1-line block ×4, first 2 shown]
	v_pack_b32_f16 v9, v11, v9
	v_pack_b32_f16 v7, v8, v7
	ds_write2_b32 v72, v7, v9 offset0:8 offset1:9
	v_sub_f16_e32 v7, v57, v55
	v_sub_f16_e32 v8, v64, v30
	;; [unrolled: 1-line block ×8, first 2 shown]
	v_pack_b32_f16 v7, v7, v12
	v_add_u32_e32 v12, 0x1968, v72
	v_pack_b32_f16 v8, v8, v13
	ds_write2_b32 v12, v7, v8 offset1:1
	v_add_u32_e32 v7, 0x1970, v72
	v_pack_b32_f16 v8, v11, v10
	v_pack_b32_f16 v9, v9, v14
	s_movk_i32 s4, 0xcd
	ds_write2_b32 v7, v9, v8 offset1:1
	v_mul_lo_u16_sdwa v7, v3, s4 dst_sel:DWORD dst_unused:UNUSED_PAD src0_sel:BYTE_0 src1_sel:DWORD
	v_lshrrev_b16_e32 v9, 11, v7
	v_mul_lo_u16_e32 v7, 10, v9
	v_sub_u16_e32 v10, v3, v7
	v_mov_b32_e32 v12, 3
	v_lshlrev_b32_sdwa v7, v12, v10 dst_sel:DWORD dst_unused:UNUSED_PAD src0_sel:DWORD src1_sel:BYTE_0
	ds_write2_b32 v72, v73, v71 offset1:1
	s_waitcnt lgkmcnt(0)
	s_barrier
	global_load_dwordx2 v[31:32], v7, s[12:13]
	v_add_u32_e32 v11, 0x51, v3
	v_mul_lo_u16_sdwa v7, v11, s4 dst_sel:DWORD dst_unused:UNUSED_PAD src0_sel:BYTE_0 src1_sel:DWORD
	v_lshrrev_b16_e32 v38, 11, v7
	v_mul_lo_u16_e32 v7, 10, v38
	v_sub_u16_e32 v39, v11, v7
	v_lshlrev_b32_sdwa v7, v12, v39 dst_sel:DWORD dst_unused:UNUSED_PAD src0_sel:DWORD src1_sel:BYTE_0
	global_load_dwordx2 v[45:46], v7, s[12:13]
	v_add_u32_e32 v13, 0xa2, v3
	v_mul_lo_u16_sdwa v7, v13, s4 dst_sel:DWORD dst_unused:UNUSED_PAD src0_sel:BYTE_0 src1_sel:DWORD
	v_lshrrev_b16_e32 v34, 11, v7
	v_mul_lo_u16_e32 v7, 10, v34
	v_sub_u16_e32 v35, v13, v7
	v_lshlrev_b32_sdwa v7, v12, v35 dst_sel:DWORD dst_unused:UNUSED_PAD src0_sel:DWORD src1_sel:BYTE_0
	v_add_u32_e32 v29, 0xf3, v3
	s_mov_b32 s4, 0xcccd
	global_load_dwordx2 v[47:48], v7, s[12:13]
	v_mul_u32_u24_sdwa v7, v29, s4 dst_sel:DWORD dst_unused:UNUSED_PAD src0_sel:WORD_0 src1_sel:DWORD
	v_lshrrev_b32_e32 v7, 19, v7
	v_mul_lo_u16_e32 v8, 10, v7
	v_sub_u16_e32 v8, v29, v8
	v_lshlrev_b32_e32 v14, 3, v8
	global_load_dwordx2 v[49:50], v14, s[12:13]
	v_add_u32_e32 v30, 0x144, v3
	v_mul_u32_u24_sdwa v14, v30, s4 dst_sel:DWORD dst_unused:UNUSED_PAD src0_sel:WORD_0 src1_sel:DWORD
	v_lshrrev_b32_e32 v36, 19, v14
	v_mul_lo_u16_e32 v14, 10, v36
	v_sub_u16_e32 v37, v30, v14
	v_lshlrev_b32_e32 v14, 3, v37
	v_add_u32_e32 v28, 0x195, v3
	v_mul_u32_u24_sdwa v27, v28, s4 dst_sel:DWORD dst_unused:UNUSED_PAD src0_sel:WORD_0 src1_sel:DWORD
	global_load_dwordx2 v[51:52], v14, s[12:13]
	v_lshrrev_b32_e32 v42, 19, v27
	v_mul_lo_u16_e32 v14, 10, v42
	v_sub_u16_e32 v43, v28, v14
	v_lshlrev_b32_e32 v14, 3, v43
	v_add_u32_e32 v27, 0x1e6, v3
	ds_read2_b32 v[53:54], v21 offset0:42 offset1:123
	ds_read_u16 v44, v0 offset:3242
	v_mul_u32_u24_sdwa v33, v27, s4 dst_sel:DWORD dst_unused:UNUSED_PAD src0_sel:WORD_0 src1_sel:DWORD
	global_load_dwordx2 v[55:56], v14, s[12:13]
	ds_read2_b32 v[57:58], v26 offset0:84 offset1:165
	v_lshrrev_b32_e32 v40, 19, v33
	v_mul_lo_u16_e32 v33, 10, v40
	v_sub_u16_e32 v41, v27, v33
	v_lshlrev_b32_e32 v14, 3, v41
	global_load_dwordx2 v[59:60], v14, s[12:13]
	v_mul_u32_u24_e32 v9, 0x78, v9
	s_mov_b32 s5, 0xbaee
	v_mul_u32_u24_e32 v38, 0x78, v38
	v_mul_u32_u24_e32 v34, 0x78, v34
	;; [unrolled: 1-line block ×3, first 2 shown]
	v_lshlrev_b32_e32 v8, 2, v8
	v_add3_u32 v7, 0, v7, v8
	v_mul_u32_u24_e32 v36, 0x78, v36
	v_lshlrev_b32_e32 v37, 2, v37
	v_add3_u32 v36, 0, v36, v37
	s_movk_i32 s6, 0x89
	s_waitcnt vmcnt(6) lgkmcnt(2)
	v_mul_f16_sdwa v33, v31, v53 dst_sel:DWORD dst_unused:UNUSED_PAD src0_sel:WORD_1 src1_sel:DWORD
	s_waitcnt lgkmcnt(1)
	v_fma_f16 v65, v44, v31, v33
	v_mul_f16_sdwa v33, v44, v31 dst_sel:DWORD dst_unused:UNUSED_PAD src0_sel:DWORD src1_sel:WORD_1
	v_fma_f16 v66, v31, v53, -v33
	s_waitcnt lgkmcnt(0)
	v_lshrrev_b32_e32 v31, 16, v57
	v_mul_f16_sdwa v33, v57, v32 dst_sel:DWORD dst_unused:UNUSED_PAD src0_sel:DWORD src1_sel:WORD_1
	v_fma_f16 v67, v31, v32, v33
	v_mul_f16_sdwa v31, v31, v32 dst_sel:DWORD dst_unused:UNUSED_PAD src0_sel:DWORD src1_sel:WORD_1
	v_fma_f16 v14, v57, v32, -v31
	v_add_u32_e32 v31, 0x237, v3
	v_mul_u32_u24_sdwa v44, v31, s4 dst_sel:DWORD dst_unused:UNUSED_PAD src0_sel:WORD_0 src1_sel:DWORD
	v_lshrrev_b32_e32 v44, 19, v44
	v_lshrrev_b32_e32 v32, 16, v54
	v_mul_lo_u16_e32 v53, 10, v44
	s_waitcnt vmcnt(5)
	v_mul_f16_sdwa v33, v32, v45 dst_sel:DWORD dst_unused:UNUSED_PAD src0_sel:DWORD src1_sel:WORD_1
	v_sub_u16_e32 v68, v31, v53
	v_lshlrev_b32_e32 v53, 3, v68
	v_fma_f16 v69, v54, v45, -v33
	v_mul_f16_sdwa v33, v54, v45 dst_sel:DWORD dst_unused:UNUSED_PAD src0_sel:DWORD src1_sel:WORD_1
	global_load_dwordx2 v[61:62], v53, s[12:13]
	v_fma_f16 v70, v32, v45, v33
	v_add_u32_e32 v32, 0x288, v3
	v_mul_u32_u24_sdwa v33, v32, s4 dst_sel:DWORD dst_unused:UNUSED_PAD src0_sel:WORD_0 src1_sel:DWORD
	v_lshrrev_b32_e32 v71, 19, v33
	v_mul_lo_u16_e32 v33, 10, v71
	v_sub_u16_e32 v72, v32, v33
	v_lshrrev_b32_e32 v45, 16, v58
	v_lshlrev_b32_e32 v33, 3, v72
	global_load_dwordx2 v[63:64], v33, s[12:13]
	v_mul_f16_sdwa v33, v45, v46 dst_sel:DWORD dst_unused:UNUSED_PAD src0_sel:DWORD src1_sel:WORD_1
	v_fma_f16 v73, v58, v46, -v33
	v_add_u32_e32 v33, 0x2d9, v3
	v_mul_u32_u24_sdwa v57, v33, s4 dst_sel:DWORD dst_unused:UNUSED_PAD src0_sel:WORD_0 src1_sel:DWORD
	v_lshrrev_b32_e32 v75, 19, v57
	v_mul_lo_u16_e32 v57, 10, v75
	v_sub_u16_e32 v76, v33, v57
	v_lshlrev_b32_e32 v57, 3, v76
	v_mul_f16_sdwa v74, v58, v46 dst_sel:DWORD dst_unused:UNUSED_PAD src0_sel:DWORD src1_sel:WORD_1
	global_load_dwordx2 v[57:58], v57, s[12:13]
	ds_read2_b32 v[53:54], v17 offset0:76 offset1:157
	v_fma_f16 v74, v45, v46, v74
	ds_read2_b32 v[45:46], v20 offset0:118 offset1:199
	v_sub_f16_e32 v97, v65, v67
	s_movk_i32 s4, 0x3aee
	s_waitcnt lgkmcnt(1)
	v_lshrrev_b32_e32 v77, 16, v53
	s_waitcnt vmcnt(7)
	v_mul_f16_sdwa v78, v53, v47 dst_sel:DWORD dst_unused:UNUSED_PAD src0_sel:DWORD src1_sel:WORD_1
	v_fma_f16 v78, v77, v47, v78
	v_mul_f16_sdwa v77, v77, v47 dst_sel:DWORD dst_unused:UNUSED_PAD src0_sel:DWORD src1_sel:WORD_1
	v_fma_f16 v53, v53, v47, -v77
	s_waitcnt lgkmcnt(0)
	v_lshrrev_b32_e32 v47, 16, v45
	v_mul_f16_sdwa v77, v45, v48 dst_sel:DWORD dst_unused:UNUSED_PAD src0_sel:DWORD src1_sel:WORD_1
	v_fma_f16 v77, v47, v48, v77
	v_mul_f16_sdwa v47, v47, v48 dst_sel:DWORD dst_unused:UNUSED_PAD src0_sel:DWORD src1_sel:WORD_1
	v_fma_f16 v79, v45, v48, -v47
	v_lshrrev_b32_e32 v45, 16, v54
	s_waitcnt vmcnt(6)
	v_mul_f16_sdwa v47, v45, v49 dst_sel:DWORD dst_unused:UNUSED_PAD src0_sel:DWORD src1_sel:WORD_1
	v_fma_f16 v80, v54, v49, -v47
	v_mul_f16_sdwa v47, v54, v49 dst_sel:DWORD dst_unused:UNUSED_PAD src0_sel:DWORD src1_sel:WORD_1
	v_fma_f16 v54, v45, v49, v47
	v_lshrrev_b32_e32 v45, 16, v46
	ds_read2_b32 v[47:48], v25 offset0:110 offset1:191
	v_mul_f16_sdwa v49, v45, v50 dst_sel:DWORD dst_unused:UNUSED_PAD src0_sel:DWORD src1_sel:WORD_1
	v_fma_f16 v81, v46, v50, -v49
	v_mul_f16_sdwa v46, v46, v50 dst_sel:DWORD dst_unused:UNUSED_PAD src0_sel:DWORD src1_sel:WORD_1
	v_fma_f16 v82, v45, v50, v46
	ds_read2_b32 v[45:46], v16 offset0:152 offset1:233
	s_waitcnt lgkmcnt(1)
	v_lshrrev_b32_e32 v49, 16, v47
	s_waitcnt vmcnt(5)
	v_mul_f16_sdwa v50, v47, v51 dst_sel:DWORD dst_unused:UNUSED_PAD src0_sel:DWORD src1_sel:WORD_1
	v_fma_f16 v83, v49, v51, v50
	v_mul_f16_sdwa v49, v49, v51 dst_sel:DWORD dst_unused:UNUSED_PAD src0_sel:DWORD src1_sel:WORD_1
	v_fma_f16 v84, v47, v51, -v49
	s_waitcnt lgkmcnt(0)
	v_lshrrev_b32_e32 v47, 16, v45
	v_mul_f16_sdwa v49, v45, v52 dst_sel:DWORD dst_unused:UNUSED_PAD src0_sel:DWORD src1_sel:WORD_1
	v_fma_f16 v85, v47, v52, v49
	v_mul_f16_sdwa v47, v47, v52 dst_sel:DWORD dst_unused:UNUSED_PAD src0_sel:DWORD src1_sel:WORD_1
	v_fma_f16 v86, v45, v52, -v47
	v_lshrrev_b32_e32 v45, 16, v48
	s_waitcnt vmcnt(4)
	v_mul_f16_sdwa v47, v45, v55 dst_sel:DWORD dst_unused:UNUSED_PAD src0_sel:DWORD src1_sel:WORD_1
	v_fma_f16 v87, v48, v55, -v47
	v_mul_f16_sdwa v47, v48, v55 dst_sel:DWORD dst_unused:UNUSED_PAD src0_sel:DWORD src1_sel:WORD_1
	v_fma_f16 v55, v45, v55, v47
	v_lshrrev_b32_e32 v45, 16, v46
	ds_read2_b32 v[47:48], v19 offset0:16 offset1:97
	v_mul_f16_sdwa v49, v45, v56 dst_sel:DWORD dst_unused:UNUSED_PAD src0_sel:DWORD src1_sel:WORD_1
	v_fma_f16 v88, v46, v56, -v49
	v_mul_f16_sdwa v46, v46, v56 dst_sel:DWORD dst_unused:UNUSED_PAD src0_sel:DWORD src1_sel:WORD_1
	v_fma_f16 v56, v45, v56, v46
	ds_read2_b32 v[45:46], v24 offset0:58 offset1:139
	;; [unrolled: 26-line block ×3, first 2 shown]
	s_waitcnt lgkmcnt(1)
	v_lshrrev_b32_e32 v49, 16, v47
	s_waitcnt vmcnt(1)
	v_mul_f16_sdwa v50, v47, v63 dst_sel:DWORD dst_unused:UNUSED_PAD src0_sel:DWORD src1_sel:WORD_1
	v_fma_f16 v93, v49, v63, v50
	v_mul_f16_sdwa v49, v49, v63 dst_sel:DWORD dst_unused:UNUSED_PAD src0_sel:DWORD src1_sel:WORD_1
	v_fma_f16 v63, v47, v63, -v49
	s_waitcnt lgkmcnt(0)
	v_lshrrev_b32_e32 v47, 16, v45
	v_mul_f16_sdwa v49, v45, v64 dst_sel:DWORD dst_unused:UNUSED_PAD src0_sel:DWORD src1_sel:WORD_1
	v_fma_f16 v94, v47, v64, v49
	v_mul_f16_sdwa v47, v47, v64 dst_sel:DWORD dst_unused:UNUSED_PAD src0_sel:DWORD src1_sel:WORD_1
	v_fma_f16 v64, v45, v64, -v47
	v_lshrrev_b32_e32 v45, 16, v48
	s_waitcnt vmcnt(0)
	v_mul_f16_sdwa v47, v45, v57 dst_sel:DWORD dst_unused:UNUSED_PAD src0_sel:DWORD src1_sel:WORD_1
	v_fma_f16 v95, v48, v57, -v47
	v_mul_f16_sdwa v47, v48, v57 dst_sel:DWORD dst_unused:UNUSED_PAD src0_sel:DWORD src1_sel:WORD_1
	v_fma_f16 v57, v45, v57, v47
	ds_read2_b32 v[47:48], v0 offset1:81
	v_lshrrev_b32_e32 v45, 16, v46
	v_mul_f16_sdwa v49, v45, v58 dst_sel:DWORD dst_unused:UNUSED_PAD src0_sel:DWORD src1_sel:WORD_1
	v_fma_f16 v96, v46, v58, -v49
	v_mul_f16_sdwa v46, v46, v58 dst_sel:DWORD dst_unused:UNUSED_PAD src0_sel:DWORD src1_sel:WORD_1
	v_fma_f16 v58, v45, v58, v46
	s_waitcnt lgkmcnt(0)
	v_lshrrev_b32_e32 v45, 16, v47
	v_add_f16_e32 v49, v65, v67
	v_add_f16_e32 v46, v45, v65
	v_fma_f16 v65, v49, -0.5, v45
	v_add_f16_e32 v45, v47, v66
	v_add_f16_e32 v45, v45, v14
	v_add_f16_e32 v49, v66, v14
	v_sub_f16_e32 v66, v66, v14
	v_mov_b32_e32 v14, 2
	v_lshlrev_b32_sdwa v10, v14, v10 dst_sel:DWORD dst_unused:UNUSED_PAD src0_sel:DWORD src1_sel:BYTE_0
	v_fma_f16 v47, v49, -0.5, v47
	v_add_f16_e32 v46, v46, v67
	v_add3_u32 v67, 0, v9, v10
	v_fma_f16 v9, v97, s4, v47
	v_fma_f16 v10, v66, s5, v65
	;; [unrolled: 1-line block ×4, first 2 shown]
	v_pack_b32_f16 v47, v47, v65
	v_pack_b32_f16 v98, v45, v46
	;; [unrolled: 1-line block ×3, first 2 shown]
	ds_read2_b32 v[9:10], v0 offset0:162 offset1:243
	ds_read2_b32 v[45:46], v22 offset0:68 offset1:149
	;; [unrolled: 1-line block ×4, first 2 shown]
	s_waitcnt lgkmcnt(0)
	s_barrier
	ds_write_b32 v67, v47 offset:80
	v_add_f16_e32 v47, v69, v73
	v_lshrrev_b32_e32 v65, 16, v48
	ds_write2_b32 v67, v98, v99 offset1:10
	v_fma_f16 v47, v47, -0.5, v48
	v_add_f16_e32 v48, v48, v69
	v_add_f16_e32 v66, v65, v70
	v_sub_f16_e32 v67, v70, v74
	v_add_f16_e32 v70, v70, v74
	v_add_f16_e32 v66, v66, v74
	v_fma_f16 v65, v70, -0.5, v65
	v_add_f16_e32 v48, v48, v73
	v_sub_f16_e32 v69, v69, v73
	v_lshlrev_b32_sdwa v39, v14, v39 dst_sel:DWORD dst_unused:UNUSED_PAD src0_sel:DWORD src1_sel:BYTE_0
	v_add3_u32 v38, 0, v38, v39
	v_pack_b32_f16 v39, v48, v66
	v_fma_f16 v48, v67, s4, v47
	v_fma_f16 v66, v69, s5, v65
	v_pack_b32_f16 v48, v48, v66
	ds_write2_b32 v38, v39, v48 offset1:10
	v_fma_f16 v39, v67, s5, v47
	v_fma_f16 v47, v69, s4, v65
	v_pack_b32_f16 v39, v39, v47
	ds_write_b32 v38, v39 offset:80
	v_lshrrev_b32_e32 v38, 16, v9
	v_add_f16_e32 v48, v78, v77
	v_add_f16_e32 v39, v38, v78
	v_fma_f16 v38, v48, -0.5, v38
	v_add_f16_e32 v48, v9, v53
	v_add_f16_e32 v65, v53, v79
	;; [unrolled: 1-line block ×3, first 2 shown]
	v_sub_f16_e32 v47, v78, v77
	v_add_f16_e32 v48, v48, v79
	v_sub_f16_e32 v53, v53, v79
	v_lshlrev_b32_sdwa v35, v14, v35 dst_sel:DWORD dst_unused:UNUSED_PAD src0_sel:DWORD src1_sel:BYTE_0
	v_fma_f16 v9, v65, -0.5, v9
	v_add3_u32 v34, 0, v34, v35
	v_pack_b32_f16 v35, v48, v39
	v_fma_f16 v39, v47, s4, v9
	v_fma_f16 v48, v53, s5, v38
	v_pack_b32_f16 v39, v39, v48
	ds_write2_b32 v34, v35, v39 offset1:10
	v_fma_f16 v9, v47, s5, v9
	v_fma_f16 v35, v53, s4, v38
	v_pack_b32_f16 v9, v9, v35
	ds_write_b32 v34, v9 offset:80
	v_add_f16_e32 v9, v80, v81
	v_lshrrev_b32_e32 v34, 16, v10
	v_fma_f16 v9, v9, -0.5, v10
	v_add_f16_e32 v10, v10, v80
	v_add_f16_e32 v35, v34, v54
	;; [unrolled: 1-line block ×4, first 2 shown]
	v_sub_f16_e32 v38, v54, v82
	v_fma_f16 v34, v39, -0.5, v34
	v_add_f16_e32 v10, v10, v81
	v_sub_f16_e32 v39, v80, v81
	v_pack_b32_f16 v8, v10, v35
	v_fma_f16 v10, v38, s4, v9
	v_fma_f16 v35, v39, s5, v34
	v_pack_b32_f16 v10, v10, v35
	ds_write2_b32 v7, v8, v10 offset1:10
	v_fma_f16 v8, v38, s5, v9
	v_fma_f16 v9, v39, s4, v34
	v_pack_b32_f16 v8, v8, v9
	ds_write_b32 v7, v8 offset:80
	v_lshrrev_b32_e32 v7, 16, v45
	v_add_f16_e32 v10, v83, v85
	v_add_f16_e32 v8, v7, v83
	v_fma_f16 v7, v10, -0.5, v7
	v_add_f16_e32 v10, v45, v84
	v_add_f16_e32 v8, v8, v85
	;; [unrolled: 1-line block ×4, first 2 shown]
	v_sub_f16_e32 v9, v83, v85
	v_sub_f16_e32 v35, v84, v86
	v_pack_b32_f16 v8, v10, v8
	v_fma_f16 v10, v34, -0.5, v45
	v_fma_f16 v34, v9, s4, v10
	v_fma_f16 v37, v35, s5, v7
	v_pack_b32_f16 v34, v34, v37
	ds_write2_b32 v36, v8, v34 offset1:10
	v_fma_f16 v8, v9, s5, v10
	v_fma_f16 v7, v35, s4, v7
	v_pack_b32_f16 v7, v8, v7
	v_lshrrev_b32_e32 v8, 16, v46
	ds_write_b32 v36, v7 offset:80
	v_add_f16_e32 v7, v87, v88
	v_add_f16_e32 v9, v46, v87
	;; [unrolled: 1-line block ×4, first 2 shown]
	v_fma_f16 v7, v7, -0.5, v46
	v_add_f16_e32 v10, v10, v56
	v_sub_f16_e32 v34, v55, v56
	v_fma_f16 v8, v35, -0.5, v8
	v_add_f16_e32 v9, v9, v88
	v_sub_f16_e32 v35, v87, v88
	v_mul_u32_u24_e32 v36, 0x78, v42
	v_lshlrev_b32_e32 v37, 2, v43
	v_add3_u32 v36, 0, v36, v37
	v_pack_b32_f16 v9, v9, v10
	v_fma_f16 v10, v34, s4, v7
	v_fma_f16 v37, v35, s5, v8
	;; [unrolled: 1-line block ×4, first 2 shown]
	v_pack_b32_f16 v10, v10, v37
	v_pack_b32_f16 v7, v7, v8
	ds_write2_b32 v36, v9, v10 offset1:10
	ds_write_b32 v36, v7 offset:80
	v_lshrrev_b32_e32 v7, 16, v49
	v_add_f16_e32 v10, v89, v90
	v_add_f16_e32 v8, v7, v89
	v_fma_f16 v7, v10, -0.5, v7
	v_add_f16_e32 v10, v49, v59
	v_add_f16_e32 v8, v8, v90
	v_add_f16_e32 v10, v10, v60
	v_add_f16_e32 v34, v59, v60
	v_sub_f16_e32 v9, v89, v90
	v_sub_f16_e32 v35, v59, v60
	v_mul_u32_u24_e32 v36, 0x78, v40
	v_lshlrev_b32_e32 v37, 2, v41
	v_pack_b32_f16 v8, v10, v8
	v_fma_f16 v10, v34, -0.5, v49
	v_add3_u32 v36, 0, v36, v37
	v_fma_f16 v34, v9, s4, v10
	v_fma_f16 v37, v35, s5, v7
	v_pack_b32_f16 v34, v34, v37
	ds_write2_b32 v36, v8, v34 offset1:10
	v_fma_f16 v8, v9, s5, v10
	v_fma_f16 v7, v35, s4, v7
	v_pack_b32_f16 v7, v8, v7
	v_lshrrev_b32_e32 v8, 16, v50
	ds_write_b32 v36, v7 offset:80
	v_add_f16_e32 v7, v91, v92
	v_add_f16_e32 v9, v50, v91
	;; [unrolled: 1-line block ×4, first 2 shown]
	v_fma_f16 v7, v7, -0.5, v50
	v_add_f16_e32 v10, v10, v62
	v_sub_f16_e32 v34, v61, v62
	v_fma_f16 v8, v35, -0.5, v8
	v_add_f16_e32 v9, v9, v92
	v_sub_f16_e32 v35, v91, v92
	v_mul_u32_u24_e32 v36, 0x78, v44
	v_lshlrev_b32_e32 v37, 2, v68
	v_add3_u32 v36, 0, v36, v37
	v_pack_b32_f16 v9, v9, v10
	v_fma_f16 v10, v34, s4, v7
	v_fma_f16 v37, v35, s5, v8
	;; [unrolled: 1-line block ×4, first 2 shown]
	v_pack_b32_f16 v10, v10, v37
	v_pack_b32_f16 v7, v7, v8
	ds_write2_b32 v36, v9, v10 offset1:10
	ds_write_b32 v36, v7 offset:80
	v_lshrrev_b32_e32 v7, 16, v51
	v_add_f16_e32 v10, v93, v94
	v_add_f16_e32 v8, v7, v93
	v_fma_f16 v7, v10, -0.5, v7
	v_add_f16_e32 v10, v51, v63
	v_add_f16_e32 v8, v8, v94
	;; [unrolled: 1-line block ×4, first 2 shown]
	v_sub_f16_e32 v9, v93, v94
	v_sub_f16_e32 v35, v63, v64
	v_mul_u32_u24_e32 v36, 0x78, v71
	v_lshlrev_b32_e32 v37, 2, v72
	v_pack_b32_f16 v8, v10, v8
	v_fma_f16 v10, v34, -0.5, v51
	v_add3_u32 v36, 0, v36, v37
	v_fma_f16 v34, v9, s4, v10
	v_fma_f16 v37, v35, s5, v7
	v_pack_b32_f16 v34, v34, v37
	ds_write2_b32 v36, v8, v34 offset1:10
	v_fma_f16 v8, v9, s5, v10
	v_fma_f16 v7, v35, s4, v7
	v_pack_b32_f16 v7, v8, v7
	v_lshrrev_b32_e32 v8, 16, v52
	ds_write_b32 v36, v7 offset:80
	v_add_f16_e32 v7, v95, v96
	v_add_f16_e32 v9, v52, v95
	;; [unrolled: 1-line block ×4, first 2 shown]
	v_fma_f16 v7, v7, -0.5, v52
	v_add_f16_e32 v10, v10, v58
	v_sub_f16_e32 v34, v57, v58
	v_fma_f16 v8, v35, -0.5, v8
	v_add_f16_e32 v9, v9, v96
	v_sub_f16_e32 v35, v95, v96
	v_mul_u32_u24_e32 v36, 0x78, v75
	v_lshlrev_b32_e32 v37, 2, v76
	v_add3_u32 v36, 0, v36, v37
	v_pack_b32_f16 v9, v9, v10
	v_fma_f16 v10, v34, s4, v7
	v_fma_f16 v37, v35, s5, v8
	;; [unrolled: 1-line block ×4, first 2 shown]
	v_pack_b32_f16 v7, v7, v8
	v_pack_b32_f16 v10, v10, v37
	ds_write_b32 v36, v7 offset:80
	v_mul_lo_u16_sdwa v7, v3, s6 dst_sel:DWORD dst_unused:UNUSED_PAD src0_sel:BYTE_0 src1_sel:DWORD
	ds_write2_b32 v36, v9, v10 offset1:10
	v_lshrrev_b16_e32 v9, 12, v7
	v_mul_lo_u16_e32 v7, 30, v9
	v_sub_u16_e32 v10, v3, v7
	v_lshlrev_b32_sdwa v7, v12, v10 dst_sel:DWORD dst_unused:UNUSED_PAD src0_sel:DWORD src1_sel:BYTE_0
	s_waitcnt lgkmcnt(0)
	s_barrier
	global_load_dwordx2 v[44:45], v7, s[12:13] offset:80
	v_mul_lo_u16_sdwa v7, v11, s6 dst_sel:DWORD dst_unused:UNUSED_PAD src0_sel:BYTE_0 src1_sel:DWORD
	v_lshrrev_b16_e32 v38, 12, v7
	v_mul_lo_u16_e32 v7, 30, v38
	v_sub_u16_e32 v39, v11, v7
	v_lshlrev_b32_sdwa v7, v12, v39 dst_sel:DWORD dst_unused:UNUSED_PAD src0_sel:DWORD src1_sel:BYTE_0
	global_load_dwordx2 v[46:47], v7, s[12:13] offset:80
	ds_read2_b32 v[54:55], v21 offset0:42 offset1:123
	ds_read2_b32 v[58:59], v26 offset0:84 offset1:165
	v_mul_lo_u16_sdwa v7, v13, s6 dst_sel:DWORD dst_unused:UNUSED_PAD src0_sel:BYTE_0 src1_sel:DWORD
	s_mov_b32 s6, 0x8889
	v_lshrrev_b16_e32 v34, 12, v7
	s_waitcnt lgkmcnt(1)
	v_lshrrev_b32_e32 v61, 16, v54
	v_mul_lo_u16_e32 v7, 30, v34
	v_sub_u16_e32 v35, v13, v7
	v_lshlrev_b32_sdwa v7, v12, v35 dst_sel:DWORD dst_unused:UNUSED_PAD src0_sel:DWORD src1_sel:BYTE_0
	global_load_dwordx2 v[48:49], v7, s[12:13] offset:80
	v_mul_u32_u24_sdwa v41, v27, s6 dst_sel:DWORD dst_unused:UNUSED_PAD src0_sel:WORD_0 src1_sel:DWORD
	v_mul_u32_u24_e32 v9, 0x168, v9
	v_lshlrev_b32_sdwa v10, v14, v10 dst_sel:DWORD dst_unused:UNUSED_PAD src0_sel:DWORD src1_sel:BYTE_0
	v_mul_u32_u24_e32 v38, 0x168, v38
	v_lshlrev_b32_sdwa v39, v14, v39 dst_sel:DWORD dst_unused:UNUSED_PAD src0_sel:DWORD src1_sel:BYTE_0
	v_add3_u32 v38, 0, v38, v39
	v_mul_u32_u24_e32 v34, 0x168, v34
	v_lshlrev_b32_sdwa v35, v14, v35 dst_sel:DWORD dst_unused:UNUSED_PAD src0_sel:DWORD src1_sel:BYTE_0
	v_add3_u32 v34, 0, v34, v35
	s_waitcnt vmcnt(2)
	v_mul_f16_sdwa v62, v44, v54 dst_sel:DWORD dst_unused:UNUSED_PAD src0_sel:WORD_1 src1_sel:DWORD
	v_fma_f16 v64, v44, v61, v62
	v_mul_f16_sdwa v61, v44, v61 dst_sel:DWORD dst_unused:UNUSED_PAD src0_sel:WORD_1 src1_sel:DWORD
	v_fma_f16 v65, v44, v54, -v61
	ds_read_u16 v54, v0 offset:3566
	s_waitcnt lgkmcnt(1)
	v_lshrrev_b32_e32 v44, 16, v58
	v_mul_f16_sdwa v62, v45, v58 dst_sel:DWORD dst_unused:UNUSED_PAD src0_sel:WORD_1 src1_sel:DWORD
	v_fma_f16 v66, v45, v44, v62
	v_mul_f16_sdwa v44, v45, v44 dst_sel:DWORD dst_unused:UNUSED_PAD src0_sel:WORD_1 src1_sel:DWORD
	v_fma_f16 v69, v45, v58, -v44
	s_waitcnt vmcnt(1) lgkmcnt(0)
	v_mul_f16_sdwa v44, v54, v46 dst_sel:DWORD dst_unused:UNUSED_PAD src0_sel:DWORD src1_sel:WORD_1
	v_fma_f16 v70, v46, v55, -v44
	v_mul_f16_sdwa v44, v46, v55 dst_sel:DWORD dst_unused:UNUSED_PAD src0_sel:WORD_1 src1_sel:DWORD
	v_fma_f16 v71, v54, v46, v44
	v_mul_u32_u24_sdwa v44, v32, s6 dst_sel:DWORD dst_unused:UNUSED_PAD src0_sel:WORD_0 src1_sel:DWORD
	v_lshrrev_b32_e32 v72, 20, v44
	v_mul_lo_u16_e32 v44, 30, v72
	v_sub_u16_e32 v73, v32, v44
	v_lshlrev_b32_e32 v44, 3, v73
	global_load_dwordx2 v[44:45], v44, s[12:13] offset:80
	v_mul_u32_u24_sdwa v7, v29, s6 dst_sel:DWORD dst_unused:UNUSED_PAD src0_sel:WORD_0 src1_sel:DWORD
	v_lshrrev_b32_e32 v7, 20, v7
	v_lshrrev_b32_e32 v46, 16, v59
	v_mul_lo_u16_e32 v8, 30, v7
	v_mul_f16_sdwa v58, v46, v47 dst_sel:DWORD dst_unused:UNUSED_PAD src0_sel:DWORD src1_sel:WORD_1
	v_sub_u16_e32 v8, v29, v8
	v_fma_f16 v74, v59, v47, -v58
	v_mul_u32_u24_sdwa v58, v33, s6 dst_sel:DWORD dst_unused:UNUSED_PAD src0_sel:WORD_0 src1_sel:DWORD
	v_lshlrev_b32_e32 v36, 3, v8
	v_lshrrev_b32_e32 v76, 20, v58
	global_load_dwordx2 v[50:51], v36, s[12:13] offset:80
	v_mul_lo_u16_e32 v58, 30, v76
	v_sub_u16_e32 v77, v33, v58
	v_lshlrev_b32_e32 v58, 3, v77
	v_mul_u32_u24_sdwa v62, v31, s6 dst_sel:DWORD dst_unused:UNUSED_PAD src0_sel:WORD_0 src1_sel:DWORD
	v_mul_f16_sdwa v75, v59, v47 dst_sel:DWORD dst_unused:UNUSED_PAD src0_sel:DWORD src1_sel:WORD_1
	global_load_dwordx2 v[58:59], v58, s[12:13] offset:80
	v_mul_u32_u24_sdwa v36, v30, s6 dst_sel:DWORD dst_unused:UNUSED_PAD src0_sel:WORD_0 src1_sel:DWORD
	v_lshrrev_b32_e32 v36, 20, v36
	v_lshrrev_b32_e32 v67, 20, v62
	v_mul_lo_u16_e32 v37, 30, v36
	v_mul_lo_u16_e32 v62, 30, v67
	v_sub_u16_e32 v37, v30, v37
	v_sub_u16_e32 v68, v31, v62
	v_lshlrev_b32_e32 v40, 3, v37
	v_lshlrev_b32_e32 v62, 3, v68
	global_load_dwordx2 v[52:53], v40, s[12:13] offset:80
	ds_read2_b32 v[54:55], v17 offset0:76 offset1:157
	global_load_dwordx2 v[62:63], v62, s[12:13] offset:80
	v_mul_u32_u24_sdwa v40, v28, s6 dst_sel:DWORD dst_unused:UNUSED_PAD src0_sel:WORD_0 src1_sel:DWORD
	v_lshrrev_b32_e32 v42, 20, v40
	v_mul_lo_u16_e32 v40, 30, v42
	v_sub_u16_e32 v43, v28, v40
	v_lshlrev_b32_e32 v40, 3, v43
	global_load_dwordx2 v[56:57], v40, s[12:13] offset:80
	v_lshrrev_b32_e32 v40, 20, v41
	v_mul_lo_u16_e32 v41, 30, v40
	v_sub_u16_e32 v41, v27, v41
	v_lshlrev_b32_e32 v60, 3, v41
	global_load_dwordx2 v[60:61], v60, s[12:13] offset:80
	v_fma_f16 v75, v46, v47, v75
	ds_read2_b32 v[46:47], v20 offset0:118 offset1:199
	s_waitcnt lgkmcnt(1)
	v_lshrrev_b32_e32 v78, 16, v54
	s_waitcnt vmcnt(7)
	v_mul_f16_sdwa v79, v54, v48 dst_sel:DWORD dst_unused:UNUSED_PAD src0_sel:DWORD src1_sel:WORD_1
	v_fma_f16 v79, v78, v48, v79
	v_mul_f16_sdwa v78, v78, v48 dst_sel:DWORD dst_unused:UNUSED_PAD src0_sel:DWORD src1_sel:WORD_1
	v_fma_f16 v54, v54, v48, -v78
	s_waitcnt lgkmcnt(0)
	v_lshrrev_b32_e32 v48, 16, v46
	v_mul_f16_sdwa v78, v46, v49 dst_sel:DWORD dst_unused:UNUSED_PAD src0_sel:DWORD src1_sel:WORD_1
	v_fma_f16 v78, v48, v49, v78
	v_mul_f16_sdwa v48, v48, v49 dst_sel:DWORD dst_unused:UNUSED_PAD src0_sel:DWORD src1_sel:WORD_1
	v_fma_f16 v80, v46, v49, -v48
	v_lshrrev_b32_e32 v46, 16, v55
	v_sub_f16_e32 v98, v64, v66
	v_mul_u32_u24_e32 v7, 0x168, v7
	v_lshlrev_b32_e32 v8, 2, v8
	v_add3_u32 v7, 0, v7, v8
	v_mul_u32_u24_e32 v36, 0x168, v36
	v_lshlrev_b32_e32 v37, 2, v37
	v_add3_u32 v36, 0, v36, v37
	s_movk_i32 s6, 0xb7
	s_waitcnt vmcnt(5)
	v_mul_f16_sdwa v48, v46, v50 dst_sel:DWORD dst_unused:UNUSED_PAD src0_sel:DWORD src1_sel:WORD_1
	v_fma_f16 v81, v55, v50, -v48
	v_mul_f16_sdwa v48, v55, v50 dst_sel:DWORD dst_unused:UNUSED_PAD src0_sel:DWORD src1_sel:WORD_1
	v_fma_f16 v55, v46, v50, v48
	v_lshrrev_b32_e32 v46, 16, v47
	ds_read2_b32 v[48:49], v25 offset0:110 offset1:191
	v_mul_f16_sdwa v50, v46, v51 dst_sel:DWORD dst_unused:UNUSED_PAD src0_sel:DWORD src1_sel:WORD_1
	v_fma_f16 v82, v47, v51, -v50
	v_mul_f16_sdwa v47, v47, v51 dst_sel:DWORD dst_unused:UNUSED_PAD src0_sel:DWORD src1_sel:WORD_1
	v_fma_f16 v83, v46, v51, v47
	ds_read2_b32 v[46:47], v16 offset0:152 offset1:233
	s_waitcnt lgkmcnt(1)
	v_lshrrev_b32_e32 v50, 16, v48
	s_waitcnt vmcnt(3)
	v_mul_f16_sdwa v51, v48, v52 dst_sel:DWORD dst_unused:UNUSED_PAD src0_sel:DWORD src1_sel:WORD_1
	v_fma_f16 v84, v50, v52, v51
	v_mul_f16_sdwa v50, v50, v52 dst_sel:DWORD dst_unused:UNUSED_PAD src0_sel:DWORD src1_sel:WORD_1
	v_fma_f16 v52, v48, v52, -v50
	s_waitcnt lgkmcnt(0)
	v_lshrrev_b32_e32 v48, 16, v46
	v_mul_f16_sdwa v50, v46, v53 dst_sel:DWORD dst_unused:UNUSED_PAD src0_sel:DWORD src1_sel:WORD_1
	v_fma_f16 v85, v48, v53, v50
	v_mul_f16_sdwa v48, v48, v53 dst_sel:DWORD dst_unused:UNUSED_PAD src0_sel:DWORD src1_sel:WORD_1
	v_fma_f16 v53, v46, v53, -v48
	v_lshrrev_b32_e32 v46, 16, v49
	s_waitcnt vmcnt(1)
	v_mul_f16_sdwa v48, v46, v56 dst_sel:DWORD dst_unused:UNUSED_PAD src0_sel:DWORD src1_sel:WORD_1
	v_fma_f16 v86, v49, v56, -v48
	v_mul_f16_sdwa v48, v49, v56 dst_sel:DWORD dst_unused:UNUSED_PAD src0_sel:DWORD src1_sel:WORD_1
	v_fma_f16 v56, v46, v56, v48
	v_lshrrev_b32_e32 v46, 16, v47
	ds_read2_b32 v[48:49], v19 offset0:16 offset1:97
	v_mul_f16_sdwa v50, v46, v57 dst_sel:DWORD dst_unused:UNUSED_PAD src0_sel:DWORD src1_sel:WORD_1
	v_fma_f16 v87, v47, v57, -v50
	v_mul_f16_sdwa v47, v47, v57 dst_sel:DWORD dst_unused:UNUSED_PAD src0_sel:DWORD src1_sel:WORD_1
	v_fma_f16 v57, v46, v57, v47
	ds_read2_b32 v[46:47], v24 offset0:58 offset1:139
	s_waitcnt lgkmcnt(1)
	v_lshrrev_b32_e32 v50, 16, v48
	s_waitcnt vmcnt(0)
	v_mul_f16_sdwa v51, v48, v60 dst_sel:DWORD dst_unused:UNUSED_PAD src0_sel:DWORD src1_sel:WORD_1
	v_fma_f16 v88, v50, v60, v51
	v_mul_f16_sdwa v50, v50, v60 dst_sel:DWORD dst_unused:UNUSED_PAD src0_sel:DWORD src1_sel:WORD_1
	v_fma_f16 v60, v48, v60, -v50
	s_waitcnt lgkmcnt(0)
	v_lshrrev_b32_e32 v48, 16, v46
	v_mul_f16_sdwa v50, v46, v61 dst_sel:DWORD dst_unused:UNUSED_PAD src0_sel:DWORD src1_sel:WORD_1
	v_fma_f16 v89, v48, v61, v50
	v_mul_f16_sdwa v48, v48, v61 dst_sel:DWORD dst_unused:UNUSED_PAD src0_sel:DWORD src1_sel:WORD_1
	v_fma_f16 v61, v46, v61, -v48
	v_lshrrev_b32_e32 v46, 16, v49
	v_mul_f16_sdwa v48, v46, v62 dst_sel:DWORD dst_unused:UNUSED_PAD src0_sel:DWORD src1_sel:WORD_1
	v_fma_f16 v90, v49, v62, -v48
	v_mul_f16_sdwa v48, v49, v62 dst_sel:DWORD dst_unused:UNUSED_PAD src0_sel:DWORD src1_sel:WORD_1
	v_fma_f16 v62, v46, v62, v48
	v_lshrrev_b32_e32 v46, 16, v47
	ds_read2_b32 v[48:49], v4 offset0:50 offset1:131
	v_mul_f16_sdwa v50, v46, v63 dst_sel:DWORD dst_unused:UNUSED_PAD src0_sel:DWORD src1_sel:WORD_1
	v_fma_f16 v91, v47, v63, -v50
	v_mul_f16_sdwa v47, v47, v63 dst_sel:DWORD dst_unused:UNUSED_PAD src0_sel:DWORD src1_sel:WORD_1
	v_fma_f16 v63, v46, v63, v47
	ds_read2_b32 v[46:47], v18 offset0:92 offset1:173
	s_waitcnt lgkmcnt(1)
	v_lshrrev_b32_e32 v50, 16, v48
	v_mul_f16_sdwa v51, v48, v44 dst_sel:DWORD dst_unused:UNUSED_PAD src0_sel:DWORD src1_sel:WORD_1
	v_fma_f16 v92, v50, v44, v51
	v_mul_f16_sdwa v50, v50, v44 dst_sel:DWORD dst_unused:UNUSED_PAD src0_sel:DWORD src1_sel:WORD_1
	v_fma_f16 v93, v48, v44, -v50
	s_waitcnt lgkmcnt(0)
	v_lshrrev_b32_e32 v44, 16, v46
	v_mul_f16_sdwa v48, v46, v45 dst_sel:DWORD dst_unused:UNUSED_PAD src0_sel:DWORD src1_sel:WORD_1
	v_fma_f16 v94, v44, v45, v48
	v_mul_f16_sdwa v44, v44, v45 dst_sel:DWORD dst_unused:UNUSED_PAD src0_sel:DWORD src1_sel:WORD_1
	v_fma_f16 v95, v46, v45, -v44
	v_lshrrev_b32_e32 v44, 16, v49
	v_mul_f16_sdwa v45, v44, v58 dst_sel:DWORD dst_unused:UNUSED_PAD src0_sel:DWORD src1_sel:WORD_1
	v_fma_f16 v96, v49, v58, -v45
	v_mul_f16_sdwa v45, v49, v58 dst_sel:DWORD dst_unused:UNUSED_PAD src0_sel:DWORD src1_sel:WORD_1
	v_fma_f16 v58, v44, v58, v45
	ds_read2_b32 v[44:45], v0 offset1:81
	v_lshrrev_b32_e32 v46, 16, v47
	v_mul_f16_sdwa v48, v46, v59 dst_sel:DWORD dst_unused:UNUSED_PAD src0_sel:DWORD src1_sel:WORD_1
	v_fma_f16 v97, v47, v59, -v48
	v_mul_f16_sdwa v47, v47, v59 dst_sel:DWORD dst_unused:UNUSED_PAD src0_sel:DWORD src1_sel:WORD_1
	v_fma_f16 v59, v46, v59, v47
	s_waitcnt lgkmcnt(0)
	v_lshrrev_b32_e32 v46, 16, v44
	v_add_f16_e32 v48, v64, v66
	v_add_f16_e32 v47, v46, v64
	v_fma_f16 v64, v48, -0.5, v46
	v_add_f16_e32 v48, v65, v69
	v_add_f16_e32 v46, v44, v65
	v_sub_f16_e32 v65, v65, v69
	v_fma_f16 v44, v48, -0.5, v44
	v_add_f16_e32 v47, v47, v66
	v_add3_u32 v66, 0, v9, v10
	v_fma_f16 v9, v98, s4, v44
	v_fma_f16 v10, v65, s5, v64
	;; [unrolled: 1-line block ×4, first 2 shown]
	v_add_f16_e32 v46, v46, v69
	v_pack_b32_f16 v44, v44, v64
	v_pack_b32_f16 v69, v46, v47
	;; [unrolled: 1-line block ×3, first 2 shown]
	ds_read2_b32 v[9:10], v0 offset0:162 offset1:243
	ds_read2_b32 v[46:47], v22 offset0:68 offset1:149
	;; [unrolled: 1-line block ×4, first 2 shown]
	s_waitcnt lgkmcnt(0)
	s_barrier
	ds_write_b32 v66, v44 offset:240
	v_add_f16_e32 v44, v70, v74
	v_lshrrev_b32_e32 v64, 16, v45
	ds_write2_b32 v66, v69, v99 offset1:30
	v_fma_f16 v44, v44, -0.5, v45
	v_add_f16_e32 v45, v45, v70
	v_add_f16_e32 v65, v64, v71
	;; [unrolled: 1-line block ×4, first 2 shown]
	v_sub_f16_e32 v66, v71, v75
	v_fma_f16 v64, v69, -0.5, v64
	v_add_f16_e32 v45, v45, v74
	v_sub_f16_e32 v69, v70, v74
	v_pack_b32_f16 v39, v45, v65
	v_fma_f16 v45, v66, s4, v44
	v_fma_f16 v65, v69, s5, v64
	v_pack_b32_f16 v45, v45, v65
	ds_write2_b32 v38, v39, v45 offset1:30
	v_fma_f16 v39, v66, s5, v44
	v_fma_f16 v44, v69, s4, v64
	v_pack_b32_f16 v39, v39, v44
	ds_write_b32 v38, v39 offset:240
	v_lshrrev_b32_e32 v38, 16, v9
	v_add_f16_e32 v45, v79, v78
	v_add_f16_e32 v39, v38, v79
	v_fma_f16 v38, v45, -0.5, v38
	v_add_f16_e32 v45, v9, v54
	v_add_f16_e32 v64, v54, v80
	;; [unrolled: 1-line block ×3, first 2 shown]
	v_sub_f16_e32 v44, v79, v78
	v_add_f16_e32 v45, v45, v80
	v_sub_f16_e32 v54, v54, v80
	v_fma_f16 v9, v64, -0.5, v9
	v_pack_b32_f16 v35, v45, v39
	v_fma_f16 v39, v44, s4, v9
	v_fma_f16 v45, v54, s5, v38
	v_pack_b32_f16 v39, v39, v45
	ds_write2_b32 v34, v35, v39 offset1:30
	v_fma_f16 v9, v44, s5, v9
	v_fma_f16 v35, v54, s4, v38
	v_pack_b32_f16 v9, v9, v35
	ds_write_b32 v34, v9 offset:240
	v_add_f16_e32 v9, v81, v82
	v_lshrrev_b32_e32 v34, 16, v10
	v_fma_f16 v9, v9, -0.5, v10
	v_add_f16_e32 v10, v10, v81
	v_add_f16_e32 v35, v34, v55
	;; [unrolled: 1-line block ×4, first 2 shown]
	v_sub_f16_e32 v38, v55, v83
	v_fma_f16 v34, v39, -0.5, v34
	v_add_f16_e32 v10, v10, v82
	v_sub_f16_e32 v39, v81, v82
	v_pack_b32_f16 v8, v10, v35
	v_fma_f16 v10, v38, s4, v9
	v_fma_f16 v35, v39, s5, v34
	v_pack_b32_f16 v10, v10, v35
	ds_write2_b32 v7, v8, v10 offset1:30
	v_fma_f16 v8, v38, s5, v9
	v_fma_f16 v9, v39, s4, v34
	v_pack_b32_f16 v8, v8, v9
	ds_write_b32 v7, v8 offset:240
	v_lshrrev_b32_e32 v7, 16, v46
	v_add_f16_e32 v10, v84, v85
	v_add_f16_e32 v8, v7, v84
	v_fma_f16 v7, v10, -0.5, v7
	v_add_f16_e32 v10, v46, v52
	v_add_f16_e32 v8, v8, v85
	;; [unrolled: 1-line block ×4, first 2 shown]
	v_sub_f16_e32 v9, v84, v85
	v_sub_f16_e32 v35, v52, v53
	v_pack_b32_f16 v8, v10, v8
	v_fma_f16 v10, v34, -0.5, v46
	v_fma_f16 v34, v9, s4, v10
	v_fma_f16 v37, v35, s5, v7
	v_pack_b32_f16 v34, v34, v37
	ds_write2_b32 v36, v8, v34 offset1:30
	v_fma_f16 v8, v9, s5, v10
	v_fma_f16 v7, v35, s4, v7
	v_pack_b32_f16 v7, v8, v7
	v_lshrrev_b32_e32 v8, 16, v47
	ds_write_b32 v36, v7 offset:240
	v_add_f16_e32 v7, v86, v87
	v_add_f16_e32 v9, v47, v86
	;; [unrolled: 1-line block ×4, first 2 shown]
	v_fma_f16 v7, v7, -0.5, v47
	v_add_f16_e32 v10, v10, v57
	v_sub_f16_e32 v34, v56, v57
	v_fma_f16 v8, v35, -0.5, v8
	v_add_f16_e32 v9, v9, v87
	v_sub_f16_e32 v35, v86, v87
	v_mul_u32_u24_e32 v36, 0x168, v42
	v_lshlrev_b32_e32 v37, 2, v43
	v_add3_u32 v36, 0, v36, v37
	v_pack_b32_f16 v9, v9, v10
	v_fma_f16 v10, v34, s4, v7
	v_fma_f16 v37, v35, s5, v8
	;; [unrolled: 1-line block ×4, first 2 shown]
	v_pack_b32_f16 v10, v10, v37
	v_pack_b32_f16 v7, v7, v8
	ds_write2_b32 v36, v9, v10 offset1:30
	ds_write_b32 v36, v7 offset:240
	v_lshrrev_b32_e32 v7, 16, v48
	v_add_f16_e32 v10, v88, v89
	v_add_f16_e32 v8, v7, v88
	v_fma_f16 v7, v10, -0.5, v7
	v_add_f16_e32 v10, v48, v60
	v_add_f16_e32 v8, v8, v89
	;; [unrolled: 1-line block ×4, first 2 shown]
	v_sub_f16_e32 v9, v88, v89
	v_sub_f16_e32 v35, v60, v61
	v_mul_u32_u24_e32 v36, 0x168, v40
	v_lshlrev_b32_e32 v37, 2, v41
	v_pack_b32_f16 v8, v10, v8
	v_fma_f16 v10, v34, -0.5, v48
	v_add3_u32 v36, 0, v36, v37
	v_fma_f16 v34, v9, s4, v10
	v_fma_f16 v37, v35, s5, v7
	v_pack_b32_f16 v34, v34, v37
	ds_write2_b32 v36, v8, v34 offset1:30
	v_fma_f16 v8, v9, s5, v10
	v_fma_f16 v7, v35, s4, v7
	v_pack_b32_f16 v7, v8, v7
	v_lshrrev_b32_e32 v8, 16, v49
	ds_write_b32 v36, v7 offset:240
	v_add_f16_e32 v7, v90, v91
	v_add_f16_e32 v9, v49, v90
	v_add_f16_e32 v10, v8, v62
	v_add_f16_e32 v35, v62, v63
	v_fma_f16 v7, v7, -0.5, v49
	v_add_f16_e32 v10, v10, v63
	v_sub_f16_e32 v34, v62, v63
	v_fma_f16 v8, v35, -0.5, v8
	v_add_f16_e32 v9, v9, v91
	v_sub_f16_e32 v35, v90, v91
	v_mul_u32_u24_e32 v36, 0x168, v67
	v_lshlrev_b32_e32 v37, 2, v68
	v_add3_u32 v36, 0, v36, v37
	v_pack_b32_f16 v9, v9, v10
	v_fma_f16 v10, v34, s4, v7
	v_fma_f16 v37, v35, s5, v8
	;; [unrolled: 1-line block ×4, first 2 shown]
	v_pack_b32_f16 v10, v10, v37
	v_pack_b32_f16 v7, v7, v8
	ds_write2_b32 v36, v9, v10 offset1:30
	ds_write_b32 v36, v7 offset:240
	v_lshrrev_b32_e32 v7, 16, v50
	v_add_f16_e32 v10, v92, v94
	v_add_f16_e32 v8, v7, v92
	v_fma_f16 v7, v10, -0.5, v7
	v_add_f16_e32 v10, v50, v93
	v_add_f16_e32 v8, v8, v94
	;; [unrolled: 1-line block ×4, first 2 shown]
	v_sub_f16_e32 v9, v92, v94
	v_sub_f16_e32 v35, v93, v95
	v_mul_u32_u24_e32 v36, 0x168, v72
	v_lshlrev_b32_e32 v37, 2, v73
	v_pack_b32_f16 v8, v10, v8
	v_fma_f16 v10, v34, -0.5, v50
	v_add3_u32 v36, 0, v36, v37
	v_fma_f16 v34, v9, s4, v10
	v_fma_f16 v37, v35, s5, v7
	v_pack_b32_f16 v34, v34, v37
	ds_write2_b32 v36, v8, v34 offset1:30
	v_fma_f16 v8, v9, s5, v10
	v_fma_f16 v7, v35, s4, v7
	v_pack_b32_f16 v7, v8, v7
	v_lshrrev_b32_e32 v8, 16, v51
	ds_write_b32 v36, v7 offset:240
	v_add_f16_e32 v7, v96, v97
	v_add_f16_e32 v9, v51, v96
	;; [unrolled: 1-line block ×4, first 2 shown]
	v_fma_f16 v7, v7, -0.5, v51
	v_add_f16_e32 v10, v10, v59
	v_sub_f16_e32 v34, v58, v59
	v_fma_f16 v8, v35, -0.5, v8
	v_add_f16_e32 v9, v9, v97
	v_sub_f16_e32 v35, v96, v97
	v_mul_u32_u24_e32 v36, 0x168, v76
	v_lshlrev_b32_e32 v37, 2, v77
	v_add3_u32 v36, 0, v36, v37
	v_pack_b32_f16 v9, v9, v10
	v_fma_f16 v10, v34, s4, v7
	v_fma_f16 v37, v35, s5, v8
	;; [unrolled: 1-line block ×4, first 2 shown]
	v_pack_b32_f16 v7, v7, v8
	v_pack_b32_f16 v10, v10, v37
	ds_write_b32 v36, v7 offset:240
	v_lshlrev_b32_e32 v7, 1, v3
	v_mov_b32_e32 v8, 0
	ds_write2_b32 v36, v9, v10 offset1:30
	v_lshlrev_b64 v[9:10], 2, v[7:8]
	v_mov_b32_e32 v34, s13
	v_add_co_u32_e32 v9, vcc, s12, v9
	v_addc_co_u32_e32 v10, vcc, v34, v10, vcc
	s_waitcnt lgkmcnt(0)
	s_barrier
	global_load_dwordx2 v[45:46], v[9:10], off offset:320
	v_add_u32_e32 v35, -9, v3
	v_cmp_gt_u32_e32 vcc, 9, v3
	v_cndmask_b32_e32 v40, v35, v11, vcc
	v_lshlrev_b32_e32 v35, 1, v40
	v_mov_b32_e32 v36, v8
	v_lshlrev_b64 v[35:36], 2, v[35:36]
	ds_read2_b32 v[55:56], v21 offset0:42 offset1:123
	v_add_co_u32_e32 v35, vcc, s12, v35
	v_addc_co_u32_e32 v36, vcc, v34, v36, vcc
	global_load_dwordx2 v[47:48], v[35:36], off offset:320
	s_waitcnt lgkmcnt(0)
	v_lshrrev_b32_e32 v62, 16, v55
	ds_read2_b32 v[59:60], v26 offset0:84 offset1:165
	v_mul_lo_u16_sdwa v35, v13, s6 dst_sel:DWORD dst_unused:UNUSED_PAD src0_sel:BYTE_0 src1_sel:DWORD
	s_movk_i32 s6, 0x2d83
	v_lshrrev_b16_e32 v36, 14, v35
	v_mul_lo_u16_e32 v35, 0x5a, v36
	v_sub_u16_e32 v37, v13, v35
	v_lshlrev_b32_sdwa v12, v12, v37 dst_sel:DWORD dst_unused:UNUSED_PAD src0_sel:DWORD src1_sel:BYTE_0
	global_load_dwordx2 v[49:50], v12, s[12:13] offset:320
	v_mul_u32_u24_sdwa v42, v27, s6 dst_sel:DWORD dst_unused:UNUSED_PAD src0_sel:WORD_0 src1_sel:DWORD
	v_cmp_lt_u32_e32 vcc, 8, v3
	v_lshlrev_b32_e32 v40, 2, v40
	v_lshlrev_b32_sdwa v14, v14, v37 dst_sel:DWORD dst_unused:UNUSED_PAD src0_sel:DWORD src1_sel:BYTE_0
	v_mul_u32_u24_e32 v36, 0x438, v36
	v_add3_u32 v14, 0, v36, v14
	v_lshlrev_b32_e32 v11, 1, v11
	v_lshlrev_b32_e32 v13, 1, v13
	s_waitcnt vmcnt(2)
	v_mul_f16_sdwa v63, v45, v55 dst_sel:DWORD dst_unused:UNUSED_PAD src0_sel:WORD_1 src1_sel:DWORD
	v_fma_f16 v65, v45, v62, v63
	v_mul_f16_sdwa v62, v45, v62 dst_sel:DWORD dst_unused:UNUSED_PAD src0_sel:WORD_1 src1_sel:DWORD
	v_fma_f16 v66, v45, v55, -v62
	ds_read_u16 v55, v0 offset:3566
	s_waitcnt lgkmcnt(1)
	v_lshrrev_b32_e32 v45, 16, v59
	v_mul_f16_sdwa v63, v46, v59 dst_sel:DWORD dst_unused:UNUSED_PAD src0_sel:WORD_1 src1_sel:DWORD
	v_fma_f16 v67, v46, v45, v63
	v_mul_f16_sdwa v45, v46, v45 dst_sel:DWORD dst_unused:UNUSED_PAD src0_sel:WORD_1 src1_sel:DWORD
	v_fma_f16 v70, v46, v59, -v45
	v_mul_u32_u24_sdwa v63, v31, s6 dst_sel:DWORD dst_unused:UNUSED_PAD src0_sel:WORD_0 src1_sel:DWORD
	v_lshrrev_b32_e32 v68, 20, v63
	s_waitcnt vmcnt(1) lgkmcnt(0)
	v_mul_f16_sdwa v45, v55, v47 dst_sel:DWORD dst_unused:UNUSED_PAD src0_sel:DWORD src1_sel:WORD_1
	v_fma_f16 v71, v47, v56, -v45
	v_mul_f16_sdwa v45, v47, v56 dst_sel:DWORD dst_unused:UNUSED_PAD src0_sel:WORD_1 src1_sel:DWORD
	v_fma_f16 v72, v55, v47, v45
	v_mul_u32_u24_sdwa v45, v32, s6 dst_sel:DWORD dst_unused:UNUSED_PAD src0_sel:WORD_0 src1_sel:DWORD
	v_lshrrev_b32_e32 v73, 20, v45
	v_mul_lo_u16_e32 v45, 0x5a, v73
	v_sub_u16_e32 v74, v32, v45
	v_lshlrev_b32_e32 v45, 3, v74
	global_load_dwordx2 v[45:46], v45, s[12:13] offset:320
	v_mul_u32_u24_sdwa v12, v29, s6 dst_sel:DWORD dst_unused:UNUSED_PAD src0_sel:WORD_0 src1_sel:DWORD
	v_lshrrev_b32_e32 v12, 20, v12
	v_lshrrev_b32_e32 v47, 16, v60
	v_mul_lo_u16_e32 v35, 0x5a, v12
	v_mul_f16_sdwa v59, v47, v48 dst_sel:DWORD dst_unused:UNUSED_PAD src0_sel:DWORD src1_sel:WORD_1
	v_sub_u16_e32 v35, v29, v35
	v_fma_f16 v75, v60, v48, -v59
	v_mul_u32_u24_sdwa v59, v33, s6 dst_sel:DWORD dst_unused:UNUSED_PAD src0_sel:WORD_0 src1_sel:DWORD
	v_lshlrev_b32_e32 v38, 3, v35
	v_lshrrev_b32_e32 v59, 20, v59
	global_load_dwordx2 v[51:52], v38, s[12:13] offset:320
	v_mul_lo_u16_e32 v59, 0x5a, v59
	v_sub_u16_e32 v77, v33, v59
	v_lshlrev_b32_e32 v59, 3, v77
	v_mul_f16_sdwa v76, v60, v48 dst_sel:DWORD dst_unused:UNUSED_PAD src0_sel:DWORD src1_sel:WORD_1
	global_load_dwordx2 v[59:60], v59, s[12:13] offset:320
	v_mul_u32_u24_sdwa v38, v30, s6 dst_sel:DWORD dst_unused:UNUSED_PAD src0_sel:WORD_0 src1_sel:DWORD
	v_lshrrev_b32_e32 v38, 20, v38
	v_mul_lo_u16_e32 v39, 0x5a, v38
	v_mul_lo_u16_e32 v63, 0x5a, v68
	v_sub_u16_e32 v39, v30, v39
	v_sub_u16_e32 v69, v31, v63
	v_lshlrev_b32_e32 v41, 3, v39
	v_lshlrev_b32_e32 v63, 3, v69
	global_load_dwordx2 v[53:54], v41, s[12:13] offset:320
	ds_read2_b32 v[55:56], v17 offset0:76 offset1:157
	global_load_dwordx2 v[63:64], v63, s[12:13] offset:320
	v_mul_u32_u24_sdwa v41, v28, s6 dst_sel:DWORD dst_unused:UNUSED_PAD src0_sel:WORD_0 src1_sel:DWORD
	v_lshrrev_b32_e32 v43, 20, v41
	v_mul_lo_u16_e32 v41, 0x5a, v43
	v_sub_u16_e32 v44, v28, v41
	v_lshlrev_b32_e32 v41, 3, v44
	global_load_dwordx2 v[57:58], v41, s[12:13] offset:320
	v_lshrrev_b32_e32 v41, 20, v42
	v_mul_lo_u16_e32 v42, 0x5a, v41
	v_sub_u16_e32 v42, v27, v42
	v_lshlrev_b32_e32 v61, 3, v42
	global_load_dwordx2 v[61:62], v61, s[12:13] offset:320
	v_fma_f16 v76, v47, v48, v76
	ds_read2_b32 v[47:48], v20 offset0:118 offset1:199
	s_waitcnt lgkmcnt(1)
	v_lshrrev_b32_e32 v78, 16, v55
	s_waitcnt vmcnt(7)
	v_mul_f16_sdwa v79, v55, v49 dst_sel:DWORD dst_unused:UNUSED_PAD src0_sel:DWORD src1_sel:WORD_1
	v_fma_f16 v79, v78, v49, v79
	v_mul_f16_sdwa v78, v78, v49 dst_sel:DWORD dst_unused:UNUSED_PAD src0_sel:DWORD src1_sel:WORD_1
	v_fma_f16 v55, v55, v49, -v78
	s_waitcnt lgkmcnt(0)
	v_lshrrev_b32_e32 v49, 16, v47
	v_mul_f16_sdwa v78, v47, v50 dst_sel:DWORD dst_unused:UNUSED_PAD src0_sel:DWORD src1_sel:WORD_1
	v_fma_f16 v78, v49, v50, v78
	v_mul_f16_sdwa v49, v49, v50 dst_sel:DWORD dst_unused:UNUSED_PAD src0_sel:DWORD src1_sel:WORD_1
	v_fma_f16 v80, v47, v50, -v49
	v_lshrrev_b32_e32 v47, 16, v56
	v_sub_f16_e32 v100, v65, v67
	v_mul_u32_u24_e32 v12, 0x438, v12
	v_lshlrev_b32_e32 v35, 2, v35
	v_add3_u32 v12, 0, v12, v35
	v_mul_u32_u24_e32 v38, 0x438, v38
	v_lshlrev_b32_e32 v39, 2, v39
	v_add3_u32 v38, 0, v38, v39
	s_movk_i32 s6, 0x795d
	s_waitcnt vmcnt(5)
	v_mul_f16_sdwa v49, v47, v51 dst_sel:DWORD dst_unused:UNUSED_PAD src0_sel:DWORD src1_sel:WORD_1
	v_fma_f16 v81, v56, v51, -v49
	v_mul_f16_sdwa v49, v56, v51 dst_sel:DWORD dst_unused:UNUSED_PAD src0_sel:DWORD src1_sel:WORD_1
	v_fma_f16 v56, v47, v51, v49
	v_lshrrev_b32_e32 v47, 16, v48
	ds_read2_b32 v[49:50], v25 offset0:110 offset1:191
	v_mul_f16_sdwa v51, v47, v52 dst_sel:DWORD dst_unused:UNUSED_PAD src0_sel:DWORD src1_sel:WORD_1
	v_fma_f16 v82, v48, v52, -v51
	v_mul_f16_sdwa v48, v48, v52 dst_sel:DWORD dst_unused:UNUSED_PAD src0_sel:DWORD src1_sel:WORD_1
	v_fma_f16 v83, v47, v52, v48
	ds_read2_b32 v[47:48], v16 offset0:152 offset1:233
	s_waitcnt lgkmcnt(1)
	v_lshrrev_b32_e32 v51, 16, v49
	s_waitcnt vmcnt(3)
	v_mul_f16_sdwa v52, v49, v53 dst_sel:DWORD dst_unused:UNUSED_PAD src0_sel:DWORD src1_sel:WORD_1
	v_fma_f16 v84, v51, v53, v52
	v_mul_f16_sdwa v51, v51, v53 dst_sel:DWORD dst_unused:UNUSED_PAD src0_sel:DWORD src1_sel:WORD_1
	v_fma_f16 v85, v49, v53, -v51
	s_waitcnt lgkmcnt(0)
	v_lshrrev_b32_e32 v49, 16, v47
	v_mul_f16_sdwa v51, v47, v54 dst_sel:DWORD dst_unused:UNUSED_PAD src0_sel:DWORD src1_sel:WORD_1
	v_fma_f16 v86, v49, v54, v51
	v_mul_f16_sdwa v49, v49, v54 dst_sel:DWORD dst_unused:UNUSED_PAD src0_sel:DWORD src1_sel:WORD_1
	v_fma_f16 v87, v47, v54, -v49
	v_lshrrev_b32_e32 v47, 16, v50
	s_waitcnt vmcnt(1)
	v_mul_f16_sdwa v49, v47, v57 dst_sel:DWORD dst_unused:UNUSED_PAD src0_sel:DWORD src1_sel:WORD_1
	v_fma_f16 v88, v50, v57, -v49
	v_mul_f16_sdwa v49, v50, v57 dst_sel:DWORD dst_unused:UNUSED_PAD src0_sel:DWORD src1_sel:WORD_1
	v_fma_f16 v57, v47, v57, v49
	v_lshrrev_b32_e32 v47, 16, v48
	ds_read2_b32 v[49:50], v19 offset0:16 offset1:97
	v_mul_f16_sdwa v51, v47, v58 dst_sel:DWORD dst_unused:UNUSED_PAD src0_sel:DWORD src1_sel:WORD_1
	v_fma_f16 v89, v48, v58, -v51
	v_mul_f16_sdwa v48, v48, v58 dst_sel:DWORD dst_unused:UNUSED_PAD src0_sel:DWORD src1_sel:WORD_1
	v_fma_f16 v58, v47, v58, v48
	ds_read2_b32 v[47:48], v24 offset0:58 offset1:139
	s_waitcnt lgkmcnt(1)
	v_lshrrev_b32_e32 v51, 16, v49
	s_waitcnt vmcnt(0)
	v_mul_f16_sdwa v52, v49, v61 dst_sel:DWORD dst_unused:UNUSED_PAD src0_sel:DWORD src1_sel:WORD_1
	v_fma_f16 v90, v51, v61, v52
	v_mul_f16_sdwa v51, v51, v61 dst_sel:DWORD dst_unused:UNUSED_PAD src0_sel:DWORD src1_sel:WORD_1
	v_fma_f16 v61, v49, v61, -v51
	s_waitcnt lgkmcnt(0)
	v_lshrrev_b32_e32 v49, 16, v47
	v_mul_f16_sdwa v51, v47, v62 dst_sel:DWORD dst_unused:UNUSED_PAD src0_sel:DWORD src1_sel:WORD_1
	v_fma_f16 v91, v49, v62, v51
	v_mul_f16_sdwa v49, v49, v62 dst_sel:DWORD dst_unused:UNUSED_PAD src0_sel:DWORD src1_sel:WORD_1
	v_fma_f16 v62, v47, v62, -v49
	v_lshrrev_b32_e32 v47, 16, v50
	v_mul_f16_sdwa v49, v47, v63 dst_sel:DWORD dst_unused:UNUSED_PAD src0_sel:DWORD src1_sel:WORD_1
	v_fma_f16 v92, v50, v63, -v49
	v_mul_f16_sdwa v49, v50, v63 dst_sel:DWORD dst_unused:UNUSED_PAD src0_sel:DWORD src1_sel:WORD_1
	v_fma_f16 v63, v47, v63, v49
	v_lshrrev_b32_e32 v47, 16, v48
	ds_read2_b32 v[49:50], v4 offset0:50 offset1:131
	v_mul_f16_sdwa v51, v47, v64 dst_sel:DWORD dst_unused:UNUSED_PAD src0_sel:DWORD src1_sel:WORD_1
	v_fma_f16 v93, v48, v64, -v51
	v_mul_f16_sdwa v48, v48, v64 dst_sel:DWORD dst_unused:UNUSED_PAD src0_sel:DWORD src1_sel:WORD_1
	v_fma_f16 v64, v47, v64, v48
	ds_read2_b32 v[47:48], v18 offset0:92 offset1:173
	s_waitcnt lgkmcnt(1)
	v_lshrrev_b32_e32 v51, 16, v49
	v_mul_f16_sdwa v52, v49, v45 dst_sel:DWORD dst_unused:UNUSED_PAD src0_sel:DWORD src1_sel:WORD_1
	v_fma_f16 v94, v51, v45, v52
	v_mul_f16_sdwa v51, v51, v45 dst_sel:DWORD dst_unused:UNUSED_PAD src0_sel:DWORD src1_sel:WORD_1
	v_fma_f16 v95, v49, v45, -v51
	s_waitcnt lgkmcnt(0)
	v_lshrrev_b32_e32 v45, 16, v47
	v_mul_f16_sdwa v49, v47, v46 dst_sel:DWORD dst_unused:UNUSED_PAD src0_sel:DWORD src1_sel:WORD_1
	v_fma_f16 v96, v45, v46, v49
	v_mul_f16_sdwa v45, v45, v46 dst_sel:DWORD dst_unused:UNUSED_PAD src0_sel:DWORD src1_sel:WORD_1
	v_fma_f16 v97, v47, v46, -v45
	v_lshrrev_b32_e32 v45, 16, v50
	v_mul_f16_sdwa v46, v45, v59 dst_sel:DWORD dst_unused:UNUSED_PAD src0_sel:DWORD src1_sel:WORD_1
	v_fma_f16 v98, v50, v59, -v46
	v_mul_f16_sdwa v46, v50, v59 dst_sel:DWORD dst_unused:UNUSED_PAD src0_sel:DWORD src1_sel:WORD_1
	v_fma_f16 v59, v45, v59, v46
	ds_read2_b32 v[45:46], v0 offset1:81
	v_lshrrev_b32_e32 v47, 16, v48
	v_mul_f16_sdwa v49, v47, v60 dst_sel:DWORD dst_unused:UNUSED_PAD src0_sel:DWORD src1_sel:WORD_1
	v_fma_f16 v99, v48, v60, -v49
	v_mul_f16_sdwa v48, v48, v60 dst_sel:DWORD dst_unused:UNUSED_PAD src0_sel:DWORD src1_sel:WORD_1
	v_fma_f16 v60, v47, v60, v48
	s_waitcnt lgkmcnt(0)
	v_lshrrev_b32_e32 v47, 16, v45
	v_add_f16_e32 v49, v65, v67
	v_add_f16_e32 v48, v47, v65
	v_fma_f16 v65, v49, -0.5, v47
	v_add_f16_e32 v47, v45, v66
	v_add_f16_e32 v49, v66, v70
	;; [unrolled: 1-line block ×4, first 2 shown]
	v_sub_f16_e32 v66, v66, v70
	v_fma_f16 v45, v49, -0.5, v45
	v_pack_b32_f16 v67, v47, v48
	v_fma_f16 v47, v100, s4, v45
	v_fma_f16 v48, v66, s5, v65
	v_pack_b32_f16 v70, v47, v48
	v_fma_f16 v45, v100, s5, v45
	v_fma_f16 v65, v66, s4, v65
	ds_read2_b32 v[47:48], v0 offset0:162 offset1:243
	ds_read2_b32 v[49:50], v22 offset0:68 offset1:149
	;; [unrolled: 1-line block ×4, first 2 shown]
	s_waitcnt lgkmcnt(0)
	s_barrier
	ds_write2_b32 v0, v67, v70 offset1:90
	v_add_f16_e32 v66, v71, v75
	v_lshrrev_b32_e32 v67, 16, v46
	v_pack_b32_f16 v45, v45, v65
	v_fma_f16 v66, v66, -0.5, v46
	v_add_f16_e32 v46, v46, v71
	v_add_f16_e32 v70, v67, v72
	v_sub_f16_e32 v100, v72, v76
	v_add_f16_e32 v72, v72, v76
	ds_write_b32 v0, v45 offset:720
	v_mov_b32_e32 v45, 0x438
	v_add_f16_e32 v70, v70, v76
	v_fma_f16 v67, v72, -0.5, v67
	v_add_f16_e32 v46, v46, v75
	v_sub_f16_e32 v71, v71, v75
	v_cndmask_b32_e32 v45, 0, v45, vcc
	v_add3_u32 v40, 0, v45, v40
	v_pack_b32_f16 v45, v46, v70
	v_fma_f16 v46, v100, s4, v66
	v_fma_f16 v65, v71, s5, v67
	v_pack_b32_f16 v46, v46, v65
	ds_write2_b32 v40, v45, v46 offset1:90
	v_fma_f16 v45, v100, s5, v66
	v_fma_f16 v46, v71, s4, v67
	v_pack_b32_f16 v45, v45, v46
	ds_write_b32 v40, v45 offset:720
	v_lshrrev_b32_e32 v40, 16, v47
	v_add_f16_e32 v65, v79, v78
	v_add_f16_e32 v45, v40, v79
	v_fma_f16 v40, v65, -0.5, v40
	v_add_f16_e32 v65, v47, v55
	v_add_f16_e32 v66, v55, v80
	;; [unrolled: 1-line block ×3, first 2 shown]
	v_sub_f16_e32 v46, v79, v78
	v_add_f16_e32 v65, v65, v80
	v_sub_f16_e32 v55, v55, v80
	v_fma_f16 v37, v66, -0.5, v47
	v_pack_b32_f16 v36, v65, v45
	v_fma_f16 v45, v46, s4, v37
	v_fma_f16 v47, v55, s5, v40
	v_pack_b32_f16 v45, v45, v47
	ds_write2_b32 v14, v36, v45 offset1:90
	v_fma_f16 v36, v46, s5, v37
	v_fma_f16 v37, v55, s4, v40
	v_pack_b32_f16 v36, v36, v37
	ds_write_b32 v14, v36 offset:720
	v_lshrrev_b32_e32 v36, 16, v48
	v_add_f16_e32 v14, v81, v82
	v_add_f16_e32 v37, v48, v81
	;; [unrolled: 1-line block ×4, first 2 shown]
	v_fma_f16 v14, v14, -0.5, v48
	v_add_f16_e32 v40, v40, v83
	v_sub_f16_e32 v45, v56, v83
	v_fma_f16 v36, v46, -0.5, v36
	v_add_f16_e32 v37, v37, v82
	v_sub_f16_e32 v46, v81, v82
	v_pack_b32_f16 v35, v37, v40
	v_fma_f16 v37, v45, s4, v14
	v_fma_f16 v40, v46, s5, v36
	v_pack_b32_f16 v37, v37, v40
	ds_write2_b32 v12, v35, v37 offset1:90
	v_fma_f16 v14, v45, s5, v14
	v_fma_f16 v35, v46, s4, v36
	v_pack_b32_f16 v14, v14, v35
	ds_write_b32 v12, v14 offset:720
	v_lshrrev_b32_e32 v12, 16, v49
	v_add_f16_e32 v36, v84, v86
	v_add_f16_e32 v14, v12, v84
	v_fma_f16 v12, v36, -0.5, v12
	v_add_f16_e32 v36, v49, v85
	v_add_f16_e32 v14, v14, v86
	;; [unrolled: 1-line block ×4, first 2 shown]
	v_sub_f16_e32 v35, v84, v86
	v_sub_f16_e32 v40, v85, v87
	v_pack_b32_f16 v14, v36, v14
	v_fma_f16 v36, v37, -0.5, v49
	v_fma_f16 v37, v35, s4, v36
	v_fma_f16 v39, v40, s5, v12
	v_pack_b32_f16 v37, v37, v39
	ds_write2_b32 v38, v14, v37 offset1:90
	v_fma_f16 v14, v35, s5, v36
	v_fma_f16 v12, v40, s4, v12
	v_pack_b32_f16 v12, v14, v12
	v_lshrrev_b32_e32 v14, 16, v50
	ds_write_b32 v38, v12 offset:720
	v_add_f16_e32 v12, v88, v89
	v_add_f16_e32 v35, v50, v88
	v_add_f16_e32 v36, v14, v57
	v_add_f16_e32 v38, v57, v58
	v_fma_f16 v12, v12, -0.5, v50
	v_add_f16_e32 v36, v36, v58
	v_sub_f16_e32 v37, v57, v58
	v_fma_f16 v14, v38, -0.5, v14
	v_add_f16_e32 v35, v35, v89
	v_sub_f16_e32 v38, v88, v89
	v_mul_u32_u24_e32 v39, 0x438, v43
	v_lshlrev_b32_e32 v40, 2, v44
	v_add3_u32 v39, 0, v39, v40
	v_pack_b32_f16 v35, v35, v36
	v_fma_f16 v36, v37, s4, v12
	v_fma_f16 v40, v38, s5, v14
	;; [unrolled: 1-line block ×4, first 2 shown]
	v_pack_b32_f16 v36, v36, v40
	v_pack_b32_f16 v12, v12, v14
	ds_write2_b32 v39, v35, v36 offset1:90
	ds_write_b32 v39, v12 offset:720
	v_lshrrev_b32_e32 v12, 16, v51
	v_add_f16_e32 v36, v90, v91
	v_add_f16_e32 v14, v12, v90
	v_fma_f16 v12, v36, -0.5, v12
	v_add_f16_e32 v36, v51, v61
	v_add_f16_e32 v14, v14, v91
	;; [unrolled: 1-line block ×4, first 2 shown]
	v_sub_f16_e32 v35, v90, v91
	v_sub_f16_e32 v38, v61, v62
	v_mul_u32_u24_e32 v39, 0x438, v41
	v_lshlrev_b32_e32 v40, 2, v42
	v_pack_b32_f16 v14, v36, v14
	v_fma_f16 v36, v37, -0.5, v51
	v_add3_u32 v39, 0, v39, v40
	v_fma_f16 v37, v35, s4, v36
	v_fma_f16 v40, v38, s5, v12
	v_pack_b32_f16 v37, v37, v40
	ds_write2_b32 v39, v14, v37 offset1:90
	v_fma_f16 v14, v35, s5, v36
	v_fma_f16 v12, v38, s4, v12
	v_pack_b32_f16 v12, v14, v12
	v_lshrrev_b32_e32 v14, 16, v52
	ds_write_b32 v39, v12 offset:720
	v_add_f16_e32 v12, v92, v93
	v_add_f16_e32 v35, v52, v92
	;; [unrolled: 1-line block ×4, first 2 shown]
	v_fma_f16 v12, v12, -0.5, v52
	v_add_f16_e32 v36, v36, v64
	v_sub_f16_e32 v37, v63, v64
	v_fma_f16 v14, v38, -0.5, v14
	v_add_f16_e32 v35, v35, v93
	v_sub_f16_e32 v38, v92, v93
	v_mul_u32_u24_e32 v39, 0x438, v68
	v_lshlrev_b32_e32 v40, 2, v69
	v_add3_u32 v39, 0, v39, v40
	v_pack_b32_f16 v35, v35, v36
	v_fma_f16 v36, v37, s4, v12
	v_fma_f16 v40, v38, s5, v14
	;; [unrolled: 1-line block ×4, first 2 shown]
	v_pack_b32_f16 v36, v36, v40
	v_pack_b32_f16 v12, v12, v14
	ds_write2_b32 v39, v35, v36 offset1:90
	ds_write_b32 v39, v12 offset:720
	v_lshrrev_b32_e32 v12, 16, v53
	v_add_f16_e32 v36, v94, v96
	v_add_f16_e32 v14, v12, v94
	v_fma_f16 v12, v36, -0.5, v12
	v_add_f16_e32 v36, v53, v95
	v_add_f16_e32 v14, v14, v96
	;; [unrolled: 1-line block ×4, first 2 shown]
	v_sub_f16_e32 v35, v94, v96
	v_sub_f16_e32 v38, v95, v97
	v_mul_u32_u24_e32 v39, 0x438, v73
	v_lshlrev_b32_e32 v40, 2, v74
	v_pack_b32_f16 v14, v36, v14
	v_fma_f16 v36, v37, -0.5, v53
	v_add3_u32 v39, 0, v39, v40
	v_fma_f16 v37, v35, s4, v36
	v_fma_f16 v40, v38, s5, v12
	v_pack_b32_f16 v37, v37, v40
	ds_write2_b32 v39, v14, v37 offset1:90
	v_fma_f16 v14, v35, s5, v36
	v_fma_f16 v12, v38, s4, v12
	v_pack_b32_f16 v12, v14, v12
	v_lshrrev_b32_e32 v14, 16, v54
	ds_write_b32 v39, v12 offset:720
	v_add_f16_e32 v12, v98, v99
	v_add_f16_e32 v35, v54, v98
	;; [unrolled: 1-line block ×4, first 2 shown]
	v_fma_f16 v12, v12, -0.5, v54
	v_add_f16_e32 v36, v36, v60
	v_sub_f16_e32 v37, v59, v60
	v_fma_f16 v14, v38, -0.5, v14
	v_add_f16_e32 v35, v35, v99
	v_sub_f16_e32 v38, v98, v99
	v_pack_b32_f16 v35, v35, v36
	v_fma_f16 v36, v37, s4, v12
	v_fma_f16 v39, v38, s5, v14
	v_pack_b32_f16 v36, v36, v39
	v_lshl_add_u32 v39, v77, 2, 0
	v_fma_f16 v12, v37, s5, v12
	v_fma_f16 v14, v38, s4, v14
	v_add_u32_e32 v40, 0x2000, v39
	v_pack_b32_f16 v12, v12, v14
	ds_write2_b32 v40, v35, v36 offset0:112 offset1:202
	ds_write_b32 v39, v12 offset:9360
	s_waitcnt lgkmcnt(0)
	s_barrier
	global_load_dwordx2 v[38:39], v[9:10], off offset:1040
	v_mov_b32_e32 v12, v8
	v_lshlrev_b64 v[11:12], 2, v[11:12]
	v_mov_b32_e32 v14, v8
	v_add_co_u32_e32 v11, vcc, s12, v11
	v_addc_co_u32_e32 v12, vcc, v34, v12, vcc
	global_load_dwordx2 v[40:41], v[11:12], off offset:1040
	v_lshlrev_b64 v[13:14], 2, v[13:14]
	v_subrev_u32_e32 v35, 27, v3
	v_add_co_u32_e32 v13, vcc, s12, v13
	v_addc_co_u32_e32 v14, vcc, v34, v14, vcc
	global_load_dwordx2 v[42:43], v[13:14], off offset:1040
	v_cmp_gt_u32_e32 vcc, 27, v3
	v_cndmask_b32_e32 v35, v35, v29, vcc
	v_lshlrev_b32_e32 v36, 1, v35
	v_mov_b32_e32 v37, v8
	v_lshlrev_b64 v[36:37], 2, v[36:37]
	ds_read2_b32 v[50:51], v21 offset0:42 offset1:123
	v_add_co_u32_e32 v36, vcc, s12, v36
	v_addc_co_u32_e32 v37, vcc, v34, v37, vcc
	global_load_dwordx2 v[44:45], v[36:37], off offset:1040
	v_add_u32_e32 v36, 0x6c, v7
	v_mov_b32_e32 v37, v8
	v_lshlrev_b64 v[36:37], 2, v[36:37]
	v_add_u32_e32 v7, 0x10e, v7
	v_add_co_u32_e32 v36, vcc, s12, v36
	v_addc_co_u32_e32 v37, vcc, v34, v37, vcc
	global_load_dwordx2 v[46:47], v[36:37], off offset:1040
	v_lshlrev_b64 v[36:37], 2, v[7:8]
	v_mul_u32_u24_sdwa v7, v27, s6 dst_sel:DWORD dst_unused:UNUSED_PAD src0_sel:WORD_0 src1_sel:DWORD
	v_add_co_u32_e32 v48, vcc, s12, v36
	v_addc_co_u32_e32 v49, vcc, v34, v37, vcc
	v_lshrrev_b32_e32 v36, 23, v7
	global_load_dwordx2 v[48:49], v[48:49], off offset:1040
	v_mul_lo_u16_e32 v7, 0x10e, v36
	v_sub_u16_e32 v37, v27, v7
	v_mul_u32_u24_sdwa v7, v31, s6 dst_sel:DWORD dst_unused:UNUSED_PAD src0_sel:WORD_0 src1_sel:DWORD
	v_lshrrev_b32_e32 v7, 23, v7
	v_mul_lo_u16_e32 v7, 0x10e, v7
	v_sub_u16_e32 v7, v31, v7
	v_lshlrev_b32_e32 v56, 3, v37
	v_lshlrev_b32_e32 v57, 3, v7
	global_load_dwordx2 v[52:53], v56, s[12:13] offset:1040
	global_load_dwordx2 v[54:55], v57, s[12:13] offset:1040
	s_waitcnt lgkmcnt(0)
	v_lshrrev_b32_e32 v58, 16, v50
	ds_read2_b32 v[56:57], v26 offset0:84 offset1:165
	v_cmp_lt_u32_e32 vcc, 26, v3
	v_lshlrev_b32_e32 v35, 2, v35
	v_add_u32_e32 v98, 0x200, v0
	v_mul_u32_u24_e32 v36, 0xca8, v36
	v_lshlrev_b32_e32 v37, 2, v37
	v_add3_u32 v36, 0, v36, v37
	v_lshl_add_u32 v7, v7, 2, 0
	s_waitcnt vmcnt(7)
	v_mul_f16_sdwa v59, v38, v50 dst_sel:DWORD dst_unused:UNUSED_PAD src0_sel:WORD_1 src1_sel:DWORD
	v_fma_f16 v59, v38, v58, v59
	v_mul_f16_sdwa v58, v38, v58 dst_sel:DWORD dst_unused:UNUSED_PAD src0_sel:WORD_1 src1_sel:DWORD
	v_fma_f16 v58, v38, v50, -v58
	ds_read_u16 v50, v0 offset:3566
	s_waitcnt lgkmcnt(1)
	v_lshrrev_b32_e32 v38, 16, v56
	v_mul_f16_sdwa v60, v39, v56 dst_sel:DWORD dst_unused:UNUSED_PAD src0_sel:WORD_1 src1_sel:DWORD
	v_fma_f16 v60, v39, v38, v60
	v_mul_f16_sdwa v38, v39, v38 dst_sel:DWORD dst_unused:UNUSED_PAD src0_sel:WORD_1 src1_sel:DWORD
	v_fma_f16 v61, v39, v56, -v38
	s_waitcnt vmcnt(6) lgkmcnt(0)
	v_mul_f16_sdwa v38, v50, v40 dst_sel:DWORD dst_unused:UNUSED_PAD src0_sel:DWORD src1_sel:WORD_1
	v_fma_f16 v62, v40, v51, -v38
	v_mul_f16_sdwa v38, v40, v51 dst_sel:DWORD dst_unused:UNUSED_PAD src0_sel:WORD_1 src1_sel:DWORD
	v_fma_f16 v63, v50, v40, v38
	v_mul_u32_u24_sdwa v38, v32, s6 dst_sel:DWORD dst_unused:UNUSED_PAD src0_sel:WORD_0 src1_sel:DWORD
	v_lshrrev_b32_e32 v38, 23, v38
	v_mul_lo_u16_e32 v38, 0x10e, v38
	v_lshrrev_b32_e32 v40, 16, v57
	v_sub_u16_e32 v64, v32, v38
	v_lshlrev_b32_e32 v38, 3, v64
	v_mul_f16_sdwa v56, v40, v41 dst_sel:DWORD dst_unused:UNUSED_PAD src0_sel:DWORD src1_sel:WORD_1
	global_load_dwordx2 v[38:39], v38, s[12:13] offset:1040
	v_fma_f16 v65, v57, v41, -v56
	v_mul_u32_u24_sdwa v56, v33, s6 dst_sel:DWORD dst_unused:UNUSED_PAD src0_sel:WORD_0 src1_sel:DWORD
	v_lshrrev_b32_e32 v56, 23, v56
	v_mul_lo_u16_e32 v56, 0x10e, v56
	v_sub_u16_e32 v67, v33, v56
	v_lshlrev_b32_e32 v56, 3, v67
	v_mul_f16_sdwa v66, v57, v41 dst_sel:DWORD dst_unused:UNUSED_PAD src0_sel:DWORD src1_sel:WORD_1
	global_load_dwordx2 v[56:57], v56, s[12:13] offset:1040
	ds_read2_b32 v[50:51], v17 offset0:76 offset1:157
	v_fma_f16 v66, v40, v41, v66
	ds_read2_b32 v[40:41], v20 offset0:118 offset1:199
	v_sub_f16_e32 v94, v58, v61
	v_sub_f16_e32 v93, v59, v60
	s_waitcnt lgkmcnt(1)
	v_lshrrev_b32_e32 v68, 16, v50
	s_waitcnt vmcnt(7)
	v_mul_f16_sdwa v69, v50, v42 dst_sel:DWORD dst_unused:UNUSED_PAD src0_sel:DWORD src1_sel:WORD_1
	v_fma_f16 v69, v68, v42, v69
	v_mul_f16_sdwa v68, v68, v42 dst_sel:DWORD dst_unused:UNUSED_PAD src0_sel:DWORD src1_sel:WORD_1
	v_fma_f16 v50, v50, v42, -v68
	s_waitcnt lgkmcnt(0)
	v_lshrrev_b32_e32 v42, 16, v40
	v_mul_f16_sdwa v68, v40, v43 dst_sel:DWORD dst_unused:UNUSED_PAD src0_sel:DWORD src1_sel:WORD_1
	v_fma_f16 v68, v42, v43, v68
	v_mul_f16_sdwa v42, v42, v43 dst_sel:DWORD dst_unused:UNUSED_PAD src0_sel:DWORD src1_sel:WORD_1
	v_fma_f16 v70, v40, v43, -v42
	v_lshrrev_b32_e32 v40, 16, v51
	s_waitcnt vmcnt(6)
	v_mul_f16_sdwa v42, v40, v44 dst_sel:DWORD dst_unused:UNUSED_PAD src0_sel:DWORD src1_sel:WORD_1
	v_fma_f16 v71, v51, v44, -v42
	v_mul_f16_sdwa v42, v51, v44 dst_sel:DWORD dst_unused:UNUSED_PAD src0_sel:DWORD src1_sel:WORD_1
	v_fma_f16 v51, v40, v44, v42
	v_lshrrev_b32_e32 v40, 16, v41
	ds_read2_b32 v[42:43], v25 offset0:110 offset1:191
	v_mul_f16_sdwa v44, v40, v45 dst_sel:DWORD dst_unused:UNUSED_PAD src0_sel:DWORD src1_sel:WORD_1
	v_fma_f16 v72, v41, v45, -v44
	v_mul_f16_sdwa v41, v41, v45 dst_sel:DWORD dst_unused:UNUSED_PAD src0_sel:DWORD src1_sel:WORD_1
	v_fma_f16 v73, v40, v45, v41
	ds_read2_b32 v[40:41], v16 offset0:152 offset1:233
	s_waitcnt lgkmcnt(1)
	v_lshrrev_b32_e32 v44, 16, v42
	s_waitcnt vmcnt(5)
	v_mul_f16_sdwa v45, v42, v46 dst_sel:DWORD dst_unused:UNUSED_PAD src0_sel:DWORD src1_sel:WORD_1
	v_fma_f16 v74, v44, v46, v45
	v_mul_f16_sdwa v44, v44, v46 dst_sel:DWORD dst_unused:UNUSED_PAD src0_sel:DWORD src1_sel:WORD_1
	v_fma_f16 v75, v42, v46, -v44
	s_waitcnt lgkmcnt(0)
	v_lshrrev_b32_e32 v42, 16, v40
	v_mul_f16_sdwa v44, v40, v47 dst_sel:DWORD dst_unused:UNUSED_PAD src0_sel:DWORD src1_sel:WORD_1
	v_fma_f16 v76, v42, v47, v44
	v_mul_f16_sdwa v42, v42, v47 dst_sel:DWORD dst_unused:UNUSED_PAD src0_sel:DWORD src1_sel:WORD_1
	v_fma_f16 v77, v40, v47, -v42
	v_lshrrev_b32_e32 v40, 16, v43
	s_waitcnt vmcnt(4)
	v_mul_f16_sdwa v42, v40, v48 dst_sel:DWORD dst_unused:UNUSED_PAD src0_sel:DWORD src1_sel:WORD_1
	v_fma_f16 v78, v43, v48, -v42
	v_mul_f16_sdwa v42, v43, v48 dst_sel:DWORD dst_unused:UNUSED_PAD src0_sel:DWORD src1_sel:WORD_1
	v_fma_f16 v48, v40, v48, v42
	v_lshrrev_b32_e32 v40, 16, v41
	ds_read2_b32 v[42:43], v19 offset0:16 offset1:97
	v_mul_f16_sdwa v44, v40, v49 dst_sel:DWORD dst_unused:UNUSED_PAD src0_sel:DWORD src1_sel:WORD_1
	v_fma_f16 v79, v41, v49, -v44
	v_mul_f16_sdwa v41, v41, v49 dst_sel:DWORD dst_unused:UNUSED_PAD src0_sel:DWORD src1_sel:WORD_1
	v_fma_f16 v49, v40, v49, v41
	ds_read2_b32 v[40:41], v24 offset0:58 offset1:139
	s_waitcnt lgkmcnt(1)
	v_lshrrev_b32_e32 v44, 16, v42
	s_waitcnt vmcnt(3)
	v_mul_f16_sdwa v45, v42, v52 dst_sel:DWORD dst_unused:UNUSED_PAD src0_sel:DWORD src1_sel:WORD_1
	v_fma_f16 v80, v44, v52, v45
	v_mul_f16_sdwa v44, v44, v52 dst_sel:DWORD dst_unused:UNUSED_PAD src0_sel:DWORD src1_sel:WORD_1
	v_fma_f16 v52, v42, v52, -v44
	s_waitcnt lgkmcnt(0)
	v_lshrrev_b32_e32 v42, 16, v40
	v_mul_f16_sdwa v44, v40, v53 dst_sel:DWORD dst_unused:UNUSED_PAD src0_sel:DWORD src1_sel:WORD_1
	v_fma_f16 v81, v42, v53, v44
	v_mul_f16_sdwa v42, v42, v53 dst_sel:DWORD dst_unused:UNUSED_PAD src0_sel:DWORD src1_sel:WORD_1
	v_fma_f16 v53, v40, v53, -v42
	v_lshrrev_b32_e32 v40, 16, v43
	s_waitcnt vmcnt(2)
	v_mul_f16_sdwa v42, v40, v54 dst_sel:DWORD dst_unused:UNUSED_PAD src0_sel:DWORD src1_sel:WORD_1
	v_fma_f16 v82, v43, v54, -v42
	v_mul_f16_sdwa v42, v43, v54 dst_sel:DWORD dst_unused:UNUSED_PAD src0_sel:DWORD src1_sel:WORD_1
	v_fma_f16 v54, v40, v54, v42
	v_lshrrev_b32_e32 v40, 16, v41
	ds_read2_b32 v[42:43], v4 offset0:50 offset1:131
	v_mul_f16_sdwa v44, v40, v55 dst_sel:DWORD dst_unused:UNUSED_PAD src0_sel:DWORD src1_sel:WORD_1
	v_fma_f16 v83, v41, v55, -v44
	v_mul_f16_sdwa v41, v41, v55 dst_sel:DWORD dst_unused:UNUSED_PAD src0_sel:DWORD src1_sel:WORD_1
	v_fma_f16 v55, v40, v55, v41
	ds_read2_b32 v[40:41], v18 offset0:92 offset1:173
	s_waitcnt lgkmcnt(1)
	v_lshrrev_b32_e32 v44, 16, v42
	s_waitcnt vmcnt(1)
	v_mul_f16_sdwa v45, v42, v38 dst_sel:DWORD dst_unused:UNUSED_PAD src0_sel:DWORD src1_sel:WORD_1
	v_fma_f16 v84, v44, v38, v45
	v_mul_f16_sdwa v44, v44, v38 dst_sel:DWORD dst_unused:UNUSED_PAD src0_sel:DWORD src1_sel:WORD_1
	v_fma_f16 v85, v42, v38, -v44
	s_waitcnt lgkmcnt(0)
	v_lshrrev_b32_e32 v38, 16, v40
	v_mul_f16_sdwa v42, v40, v39 dst_sel:DWORD dst_unused:UNUSED_PAD src0_sel:DWORD src1_sel:WORD_1
	v_fma_f16 v86, v38, v39, v42
	v_mul_f16_sdwa v38, v38, v39 dst_sel:DWORD dst_unused:UNUSED_PAD src0_sel:DWORD src1_sel:WORD_1
	v_fma_f16 v87, v40, v39, -v38
	v_lshrrev_b32_e32 v38, 16, v43
	s_waitcnt vmcnt(0)
	v_mul_f16_sdwa v39, v38, v56 dst_sel:DWORD dst_unused:UNUSED_PAD src0_sel:DWORD src1_sel:WORD_1
	v_fma_f16 v88, v43, v56, -v39
	v_mul_f16_sdwa v39, v43, v56 dst_sel:DWORD dst_unused:UNUSED_PAD src0_sel:DWORD src1_sel:WORD_1
	v_fma_f16 v56, v38, v56, v39
	ds_read2_b32 v[38:39], v0 offset1:81
	v_lshrrev_b32_e32 v40, 16, v41
	v_mul_f16_sdwa v42, v40, v57 dst_sel:DWORD dst_unused:UNUSED_PAD src0_sel:DWORD src1_sel:WORD_1
	v_fma_f16 v89, v41, v57, -v42
	v_mul_f16_sdwa v41, v41, v57 dst_sel:DWORD dst_unused:UNUSED_PAD src0_sel:DWORD src1_sel:WORD_1
	v_fma_f16 v57, v40, v57, v41
	v_add_f16_e32 v40, v58, v61
	s_waitcnt lgkmcnt(0)
	v_fma_f16 v90, v40, -0.5, v38
	v_lshrrev_b32_e32 v91, 16, v38
	v_add_f16_e32 v40, v59, v60
	v_fma_f16 v92, v40, -0.5, v91
	ds_read2_b32 v[40:41], v0 offset0:162 offset1:243
	v_add_f16_e32 v38, v38, v58
	v_add_f16_e32 v58, v91, v59
	;; [unrolled: 1-line block ×5, first 2 shown]
	v_lshrrev_b32_e32 v60, 16, v39
	v_fma_f16 v42, v93, s4, v90
	v_fma_f16 v43, v94, s5, v92
	s_waitcnt lgkmcnt(0)
	v_lshrrev_b32_e32 v96, 16, v40
	v_fma_f16 v59, v59, -0.5, v39
	v_add_f16_e32 v39, v39, v62
	v_pack_b32_f16 v38, v38, v58
	v_add_f16_e32 v58, v60, v63
	v_pack_b32_f16 v95, v42, v43
	v_add_f16_e32 v42, v40, v50
	v_add_f16_e32 v43, v96, v69
	;; [unrolled: 1-line block ×6, first 2 shown]
	v_pack_b32_f16 v39, v39, v58
	v_add_f16_e32 v61, v63, v66
	v_pack_b32_f16 v97, v42, v43
	ds_read2_b32 v[42:43], v22 offset0:68 offset1:149
	ds_read2_b32 v[44:45], v15 offset0:102 offset1:183
	;; [unrolled: 1-line block ×3, first 2 shown]
	s_waitcnt lgkmcnt(0)
	s_barrier
	ds_write2_b32 v0, v38, v39 offset1:81
	v_fma_f16 v38, v93, s5, v90
	v_fma_f16 v39, v94, s4, v92
	v_sub_f16_e32 v58, v63, v66
	v_fma_f16 v60, v61, -0.5, v60
	v_sub_f16_e32 v61, v62, v65
	v_pack_b32_f16 v38, v38, v39
	v_fma_f16 v39, v58, s5, v59
	v_fma_f16 v62, v61, s4, v60
	v_pack_b32_f16 v39, v39, v62
	ds_write2_b32 v23, v38, v39 offset0:28 offset1:109
	v_fma_f16 v38, v58, s4, v59
	v_fma_f16 v39, v61, s5, v60
	v_add_f16_e32 v59, v69, v68
	v_add_f16_e32 v60, v50, v70
	v_sub_f16_e32 v58, v69, v68
	v_fma_f16 v59, v59, -0.5, v96
	v_sub_f16_e32 v50, v50, v70
	v_pack_b32_f16 v38, v38, v39
	v_fma_f16 v39, v60, -0.5, v40
	v_fma_f16 v40, v58, s4, v39
	v_fma_f16 v60, v50, s5, v59
	v_pack_b32_f16 v40, v40, v60
	ds_write2_b32 v22, v38, v40 offset0:95 offset1:176
	v_fma_f16 v38, v58, s5, v39
	v_fma_f16 v39, v50, s4, v59
	v_add_f16_e32 v40, v71, v72
	v_fma_f16 v40, v40, -0.5, v41
	v_lshrrev_b32_e32 v50, 16, v41
	v_sub_f16_e32 v58, v51, v73
	v_pack_b32_f16 v38, v38, v39
	v_add_f16_e32 v41, v41, v71
	v_fma_f16 v59, v58, s4, v40
	v_fma_f16 v40, v58, s5, v40
	v_add_f16_e32 v58, v50, v51
	v_add_f16_e32 v51, v51, v73
	ds_write_b32 v0, v38 offset:2808
	v_mov_b32_e32 v38, 0xca8
	v_add_f16_e32 v58, v58, v73
	v_fma_f16 v50, v51, -0.5, v50
	v_add_f16_e32 v41, v41, v72
	v_sub_f16_e32 v51, v71, v72
	v_cndmask_b32_e32 v38, 0, v38, vcc
	v_fma_f16 v60, v51, s5, v50
	v_add3_u32 v35, 0, v38, v35
	v_pack_b32_f16 v38, v41, v58
	ds_write2_b32 v98, v97, v95 offset0:34 offset1:142
	v_fma_f16 v50, v51, s4, v50
	ds_write_b32 v35, v38
	v_pack_b32_f16 v38, v59, v60
	ds_write_b32 v35, v38 offset:1080
	v_pack_b32_f16 v38, v40, v50
	ds_write_b32 v35, v38 offset:2160
	v_add_f16_e32 v35, v75, v77
	v_add_f16_e32 v38, v78, v79
	v_lshrrev_b32_e32 v39, 16, v42
	v_fma_f16 v35, v35, -0.5, v42
	v_fma_f16 v38, v38, -0.5, v43
	v_lshrrev_b32_e32 v40, 16, v43
	v_add_f16_e32 v41, v42, v75
	v_add_f16_e32 v42, v43, v78
	;; [unrolled: 1-line block ×5, first 2 shown]
	v_pack_b32_f16 v41, v41, v43
	v_add_f16_e32 v43, v40, v48
	v_add_f16_e32 v42, v42, v79
	;; [unrolled: 1-line block ×3, first 2 shown]
	v_pack_b32_f16 v42, v42, v43
	ds_write2_b32 v21, v41, v42 offset0:96 offset1:177
	v_add_f16_e32 v42, v74, v76
	v_sub_f16_e32 v41, v74, v76
	v_fma_f16 v39, v42, -0.5, v39
	v_sub_f16_e32 v42, v75, v77
	v_sub_f16_e32 v43, v48, v49
	v_add_f16_e32 v48, v48, v49
	v_fma_f16 v40, v48, -0.5, v40
	v_sub_f16_e32 v48, v78, v79
	v_fma_f16 v49, v41, s4, v35
	v_fma_f16 v50, v42, s5, v39
	v_pack_b32_f16 v49, v49, v50
	v_fma_f16 v50, v43, s4, v38
	v_fma_f16 v51, v48, s5, v40
	;; [unrolled: 1-line block ×6, first 2 shown]
	v_pack_b32_f16 v35, v35, v39
	v_pack_b32_f16 v38, v38, v40
	ds_write2_b32 v19, v35, v38 offset0:124 offset1:205
	v_add_f16_e32 v35, v52, v53
	v_fma_f16 v35, v35, -0.5, v44
	v_sub_f16_e32 v38, v80, v81
	v_fma_f16 v39, v38, s4, v35
	v_fma_f16 v35, v38, s5, v35
	v_lshrrev_b32_e32 v38, 16, v44
	v_add_f16_e32 v41, v80, v81
	v_add_f16_e32 v40, v38, v80
	v_fma_f16 v38, v41, -0.5, v38
	v_add_f16_e32 v41, v44, v52
	v_sub_f16_e32 v42, v52, v53
	v_add_f16_e32 v40, v40, v81
	v_add_f16_e32 v41, v41, v53
	v_fma_f16 v43, v42, s5, v38
	v_fma_f16 v38, v42, s4, v38
	v_pack_b32_f16 v50, v50, v51
	v_pack_b32_f16 v37, v41, v40
	;; [unrolled: 1-line block ×3, first 2 shown]
	ds_write2_b32 v25, v49, v50 offset0:110 offset1:191
	ds_write_b32 v36, v37
	v_pack_b32_f16 v37, v39, v43
	ds_write_b32 v36, v35 offset:2160
	v_add_f16_e32 v35, v82, v83
	ds_write_b32 v36, v37 offset:1080
	v_fma_f16 v35, v35, -0.5, v45
	v_lshrrev_b32_e32 v36, 16, v45
	v_sub_f16_e32 v38, v54, v55
	v_add_f16_e32 v37, v45, v82
	v_fma_f16 v39, v38, s4, v35
	v_fma_f16 v35, v38, s5, v35
	v_add_f16_e32 v38, v36, v54
	v_add_f16_e32 v40, v54, v55
	v_add_f16_e32 v38, v38, v55
	v_fma_f16 v36, v40, -0.5, v36
	v_add_f16_e32 v37, v37, v83
	v_sub_f16_e32 v40, v82, v83
	v_fma_f16 v41, v40, s5, v36
	v_fma_f16 v36, v40, s4, v36
	v_pack_b32_f16 v37, v37, v38
	ds_write_b32 v7, v37 offset:6480
	v_pack_b32_f16 v37, v39, v41
	v_pack_b32_f16 v35, v35, v36
	ds_write_b32 v7, v37 offset:7560
	ds_write_b32 v7, v35 offset:8640
	v_add_f16_e32 v7, v85, v87
	v_fma_f16 v7, v7, -0.5, v46
	v_sub_f16_e32 v35, v84, v86
	v_fma_f16 v36, v35, s4, v7
	v_fma_f16 v7, v35, s5, v7
	v_lshrrev_b32_e32 v35, 16, v46
	v_add_f16_e32 v38, v84, v86
	v_add_f16_e32 v37, v35, v84
	v_fma_f16 v35, v38, -0.5, v35
	v_add_f16_e32 v38, v46, v85
	v_sub_f16_e32 v39, v85, v87
	v_add_f16_e32 v37, v37, v86
	v_add_f16_e32 v38, v38, v87
	v_fma_f16 v40, v39, s5, v35
	v_fma_f16 v35, v39, s4, v35
	v_pack_b32_f16 v37, v38, v37
	v_lshl_add_u32 v38, v64, 2, 0
	v_pack_b32_f16 v7, v7, v35
	ds_write_b32 v38, v7 offset:8640
	v_add_f16_e32 v7, v88, v89
	ds_write_b32 v38, v37 offset:6480
	v_pack_b32_f16 v36, v36, v40
	v_fma_f16 v7, v7, -0.5, v47
	v_lshrrev_b32_e32 v35, 16, v47
	v_sub_f16_e32 v37, v56, v57
	ds_write_b32 v38, v36 offset:7560
	v_add_f16_e32 v36, v47, v88
	v_fma_f16 v38, v37, s4, v7
	v_fma_f16 v7, v37, s5, v7
	v_add_f16_e32 v37, v35, v56
	v_add_f16_e32 v39, v56, v57
	;; [unrolled: 1-line block ×3, first 2 shown]
	v_fma_f16 v35, v39, -0.5, v35
	v_add_f16_e32 v36, v36, v89
	v_sub_f16_e32 v39, v88, v89
	v_fma_f16 v40, v39, s5, v35
	v_fma_f16 v35, v39, s4, v35
	v_pack_b32_f16 v36, v36, v37
	v_lshl_add_u32 v37, v67, 2, 0
	ds_write_b32 v37, v36 offset:6480
	v_pack_b32_f16 v36, v38, v40
	v_pack_b32_f16 v7, v7, v35
	ds_write_b32 v37, v36 offset:7560
	ds_write_b32 v37, v7 offset:8640
	s_waitcnt lgkmcnt(0)
	s_barrier
	global_load_dwordx2 v[35:36], v[9:10], off offset:3200
	global_load_dwordx2 v[37:38], v[11:12], off offset:3200
	;; [unrolled: 1-line block ×3, first 2 shown]
	v_lshlrev_b32_e32 v7, 1, v29
	v_lshlrev_b64 v[9:10], 2, v[7:8]
	ds_read2_b32 v[11:12], v21 offset0:42 offset1:123
	v_add_co_u32_e32 v9, vcc, s12, v9
	v_addc_co_u32_e32 v10, vcc, v34, v10, vcc
	global_load_dwordx2 v[9:10], v[9:10], off offset:3200
	v_lshlrev_b32_e32 v7, 1, v30
	v_lshlrev_b64 v[13:14], 2, v[7:8]
	s_waitcnt lgkmcnt(0)
	v_lshrrev_b32_e32 v29, 16, v11
	v_add_co_u32_e32 v13, vcc, s12, v13
	v_addc_co_u32_e32 v14, vcc, v34, v14, vcc
	global_load_dwordx2 v[13:14], v[13:14], off offset:3200
	v_lshlrev_b32_e32 v7, 1, v28
	ds_read_u16 v46, v0 offset:3566
	s_waitcnt vmcnt(4)
	v_mul_f16_sdwa v41, v35, v11 dst_sel:DWORD dst_unused:UNUSED_PAD src0_sel:WORD_1 src1_sel:DWORD
	v_fma_f16 v43, v35, v29, v41
	v_lshlrev_b64 v[41:42], 2, v[7:8]
	v_mul_f16_sdwa v44, v35, v29 dst_sel:DWORD dst_unused:UNUSED_PAD src0_sel:WORD_1 src1_sel:DWORD
	ds_read2_b32 v[29:30], v26 offset0:84 offset1:165
	v_add_co_u32_e32 v41, vcc, s12, v41
	v_addc_co_u32_e32 v42, vcc, v34, v42, vcc
	global_load_dwordx2 v[41:42], v[41:42], off offset:3200
	v_fma_f16 v44, v35, v11, -v44
	s_waitcnt lgkmcnt(0)
	v_lshrrev_b32_e32 v11, 16, v29
	v_mul_f16_sdwa v7, v36, v29 dst_sel:DWORD dst_unused:UNUSED_PAD src0_sel:WORD_1 src1_sel:DWORD
	v_fma_f16 v45, v36, v11, v7
	v_lshlrev_b32_e32 v7, 1, v27
	v_lshlrev_b64 v[27:28], 2, v[7:8]
	v_mul_f16_sdwa v7, v36, v11 dst_sel:DWORD dst_unused:UNUSED_PAD src0_sel:WORD_1 src1_sel:DWORD
	v_add_co_u32_e32 v27, vcc, s12, v27
	v_addc_co_u32_e32 v28, vcc, v34, v28, vcc
	global_load_dwordx2 v[27:28], v[27:28], off offset:3200
	v_fma_f16 v47, v36, v29, -v7
	v_lshlrev_b32_e32 v7, 1, v31
	v_lshlrev_b64 v[35:36], 2, v[7:8]
	s_waitcnt vmcnt(5)
	v_mul_f16_sdwa v11, v46, v37 dst_sel:DWORD dst_unused:UNUSED_PAD src0_sel:DWORD src1_sel:WORD_1
	v_add_co_u32_e32 v35, vcc, s12, v35
	v_addc_co_u32_e32 v36, vcc, v34, v36, vcc
	global_load_dwordx2 v[35:36], v[35:36], off offset:3200
	v_mul_f16_sdwa v7, v37, v12 dst_sel:DWORD dst_unused:UNUSED_PAD src0_sel:WORD_1 src1_sel:DWORD
	v_fma_f16 v48, v37, v12, -v11
	v_fma_f16 v37, v46, v37, v7
	v_lshlrev_b32_e32 v7, 1, v32
	v_lshlrev_b64 v[11:12], 2, v[7:8]
	v_lshlrev_b32_e32 v7, 1, v33
	v_add_co_u32_e32 v11, vcc, s12, v11
	v_addc_co_u32_e32 v12, vcc, v34, v12, vcc
	global_load_dwordx2 v[11:12], v[11:12], off offset:3200
	v_lshlrev_b64 v[31:32], 2, v[7:8]
	v_lshrrev_b32_e32 v46, 16, v30
	v_add_co_u32_e32 v31, vcc, s12, v31
	v_addc_co_u32_e32 v32, vcc, v34, v32, vcc
	global_load_dwordx2 v[31:32], v[31:32], off offset:3200
	v_mul_f16_sdwa v29, v46, v38 dst_sel:DWORD dst_unused:UNUSED_PAD src0_sel:DWORD src1_sel:WORD_1
	v_fma_f16 v49, v30, v38, -v29
	v_mul_f16_sdwa v50, v30, v38 dst_sel:DWORD dst_unused:UNUSED_PAD src0_sel:DWORD src1_sel:WORD_1
	ds_read2_b32 v[29:30], v17 offset0:76 offset1:157
	ds_read2_b32 v[33:34], v20 offset0:118 offset1:199
	v_fma_f16 v7, v46, v38, v50
	v_sub_f16_e32 v73, v43, v45
	v_sub_f16_e32 v74, v44, v47
	s_waitcnt lgkmcnt(1)
	v_lshrrev_b32_e32 v38, 16, v29
	s_waitcnt vmcnt(7)
	v_mul_f16_sdwa v46, v29, v39 dst_sel:DWORD dst_unused:UNUSED_PAD src0_sel:DWORD src1_sel:WORD_1
	v_fma_f16 v46, v38, v39, v46
	v_mul_f16_sdwa v38, v38, v39 dst_sel:DWORD dst_unused:UNUSED_PAD src0_sel:DWORD src1_sel:WORD_1
	v_fma_f16 v38, v29, v39, -v38
	s_waitcnt lgkmcnt(0)
	v_lshrrev_b32_e32 v29, 16, v33
	v_mul_f16_sdwa v39, v33, v40 dst_sel:DWORD dst_unused:UNUSED_PAD src0_sel:DWORD src1_sel:WORD_1
	v_fma_f16 v39, v29, v40, v39
	v_mul_f16_sdwa v29, v29, v40 dst_sel:DWORD dst_unused:UNUSED_PAD src0_sel:DWORD src1_sel:WORD_1
	v_fma_f16 v33, v33, v40, -v29
	v_lshrrev_b32_e32 v29, 16, v30
	s_waitcnt vmcnt(6)
	v_mul_f16_sdwa v40, v29, v9 dst_sel:DWORD dst_unused:UNUSED_PAD src0_sel:DWORD src1_sel:WORD_1
	v_fma_f16 v40, v30, v9, -v40
	v_mul_f16_sdwa v30, v30, v9 dst_sel:DWORD dst_unused:UNUSED_PAD src0_sel:DWORD src1_sel:WORD_1
	v_fma_f16 v50, v29, v9, v30
	v_lshrrev_b32_e32 v9, 16, v34
	ds_read2_b32 v[29:30], v25 offset0:110 offset1:191
	v_mul_f16_sdwa v51, v9, v10 dst_sel:DWORD dst_unused:UNUSED_PAD src0_sel:DWORD src1_sel:WORD_1
	v_fma_f16 v51, v34, v10, -v51
	v_mul_f16_sdwa v34, v34, v10 dst_sel:DWORD dst_unused:UNUSED_PAD src0_sel:DWORD src1_sel:WORD_1
	v_fma_f16 v34, v9, v10, v34
	ds_read2_b32 v[9:10], v16 offset0:152 offset1:233
	s_waitcnt lgkmcnt(1)
	v_lshrrev_b32_e32 v52, 16, v29
	s_waitcnt vmcnt(5)
	v_mul_f16_sdwa v53, v29, v13 dst_sel:DWORD dst_unused:UNUSED_PAD src0_sel:DWORD src1_sel:WORD_1
	v_fma_f16 v53, v52, v13, v53
	v_mul_f16_sdwa v52, v52, v13 dst_sel:DWORD dst_unused:UNUSED_PAD src0_sel:DWORD src1_sel:WORD_1
	v_fma_f16 v52, v29, v13, -v52
	s_waitcnt lgkmcnt(0)
	v_lshrrev_b32_e32 v13, 16, v9
	v_mul_f16_sdwa v29, v9, v14 dst_sel:DWORD dst_unused:UNUSED_PAD src0_sel:DWORD src1_sel:WORD_1
	v_fma_f16 v54, v13, v14, v29
	v_mul_f16_sdwa v13, v13, v14 dst_sel:DWORD dst_unused:UNUSED_PAD src0_sel:DWORD src1_sel:WORD_1
	v_fma_f16 v55, v9, v14, -v13
	v_lshrrev_b32_e32 v9, 16, v30
	s_waitcnt vmcnt(4)
	v_mul_f16_sdwa v13, v9, v41 dst_sel:DWORD dst_unused:UNUSED_PAD src0_sel:DWORD src1_sel:WORD_1
	v_fma_f16 v56, v30, v41, -v13
	v_mul_f16_sdwa v13, v30, v41 dst_sel:DWORD dst_unused:UNUSED_PAD src0_sel:DWORD src1_sel:WORD_1
	v_fma_f16 v41, v9, v41, v13
	v_lshrrev_b32_e32 v9, 16, v10
	ds_read2_b32 v[13:14], v19 offset0:16 offset1:97
	v_mul_f16_sdwa v29, v9, v42 dst_sel:DWORD dst_unused:UNUSED_PAD src0_sel:DWORD src1_sel:WORD_1
	v_fma_f16 v57, v10, v42, -v29
	v_mul_f16_sdwa v10, v10, v42 dst_sel:DWORD dst_unused:UNUSED_PAD src0_sel:DWORD src1_sel:WORD_1
	v_fma_f16 v42, v9, v42, v10
	ds_read2_b32 v[9:10], v24 offset0:58 offset1:139
	;; [unrolled: 26-line block ×3, first 2 shown]
	s_waitcnt lgkmcnt(1)
	v_lshrrev_b32_e32 v27, 16, v13
	s_waitcnt vmcnt(1)
	v_mul_f16_sdwa v28, v13, v11 dst_sel:DWORD dst_unused:UNUSED_PAD src0_sel:DWORD src1_sel:WORD_1
	v_fma_f16 v64, v27, v11, v28
	v_mul_f16_sdwa v27, v27, v11 dst_sel:DWORD dst_unused:UNUSED_PAD src0_sel:DWORD src1_sel:WORD_1
	v_fma_f16 v65, v13, v11, -v27
	s_waitcnt lgkmcnt(0)
	v_lshrrev_b32_e32 v11, 16, v9
	v_mul_f16_sdwa v13, v9, v12 dst_sel:DWORD dst_unused:UNUSED_PAD src0_sel:DWORD src1_sel:WORD_1
	v_fma_f16 v66, v11, v12, v13
	v_mul_f16_sdwa v11, v11, v12 dst_sel:DWORD dst_unused:UNUSED_PAD src0_sel:DWORD src1_sel:WORD_1
	v_fma_f16 v67, v9, v12, -v11
	v_lshrrev_b32_e32 v9, 16, v14
	s_waitcnt vmcnt(0)
	v_mul_f16_sdwa v11, v9, v31 dst_sel:DWORD dst_unused:UNUSED_PAD src0_sel:DWORD src1_sel:WORD_1
	v_fma_f16 v68, v14, v31, -v11
	v_mul_f16_sdwa v11, v14, v31 dst_sel:DWORD dst_unused:UNUSED_PAD src0_sel:DWORD src1_sel:WORD_1
	v_fma_f16 v31, v9, v31, v11
	ds_read2_b32 v[11:12], v0 offset1:81
	v_lshrrev_b32_e32 v9, 16, v10
	v_mul_f16_sdwa v13, v9, v32 dst_sel:DWORD dst_unused:UNUSED_PAD src0_sel:DWORD src1_sel:WORD_1
	v_fma_f16 v69, v10, v32, -v13
	v_mul_f16_sdwa v10, v10, v32 dst_sel:DWORD dst_unused:UNUSED_PAD src0_sel:DWORD src1_sel:WORD_1
	v_fma_f16 v32, v9, v32, v10
	v_add_f16_e32 v9, v44, v47
	s_waitcnt lgkmcnt(0)
	v_fma_f16 v70, v9, -0.5, v11
	v_lshrrev_b32_e32 v71, 16, v11
	v_add_f16_e32 v9, v43, v45
	v_fma_f16 v72, v9, -0.5, v71
	v_fma_f16 v9, v73, s4, v70
	v_fma_f16 v10, v74, s5, v72
	v_pack_b32_f16 v75, v9, v10
	v_add_f16_e32 v9, v48, v49
	v_fma_f16 v76, v9, -0.5, v12
	v_lshrrev_b32_e32 v77, 16, v12
	v_add_f16_e32 v9, v37, v7
	v_fma_f16 v78, v9, -0.5, v77
	v_sub_f16_e32 v79, v37, v7
	v_sub_f16_e32 v80, v48, v49
	v_fma_f16 v9, v79, s4, v76
	v_fma_f16 v10, v80, s5, v78
	v_pack_b32_f16 v81, v9, v10
	ds_read2_b32 v[9:10], v0 offset0:162 offset1:243
	ds_read2_b32 v[13:14], v22 offset0:68 offset1:149
	;; [unrolled: 1-line block ×4, first 2 shown]
	s_waitcnt lgkmcnt(0)
	s_barrier
	ds_write2_b32 v21, v75, v81 offset0:42 offset1:123
	v_fma_f16 v21, v73, s5, v70
	v_fma_f16 v70, v74, s4, v72
	;; [unrolled: 1-line block ×4, first 2 shown]
	v_pack_b32_f16 v21, v21, v70
	v_pack_b32_f16 v70, v72, v73
	ds_write2_b32 v26, v21, v70 offset0:84 offset1:165
	v_add_f16_e32 v11, v11, v44
	v_add_f16_e32 v12, v12, v48
	;; [unrolled: 1-line block ×8, first 2 shown]
	v_pack_b32_f16 v11, v11, v21
	v_pack_b32_f16 v7, v12, v7
	ds_write2_b32 v0, v11, v7 offset1:81
	v_lshrrev_b32_e32 v11, 16, v9
	v_add_f16_e32 v7, v9, v38
	v_add_f16_e32 v12, v11, v46
	;; [unrolled: 1-line block ×4, first 2 shown]
	v_lshrrev_b32_e32 v21, 16, v10
	v_pack_b32_f16 v7, v7, v12
	v_add_f16_e32 v12, v10, v40
	v_add_f16_e32 v26, v21, v50
	;; [unrolled: 1-line block ×4, first 2 shown]
	v_pack_b32_f16 v12, v12, v26
	ds_write2_b32 v0, v7, v12 offset0:162 offset1:243
	v_add_f16_e32 v7, v40, v51
	v_add_f16_e32 v0, v38, v33
	v_fma_f16 v7, v7, -0.5, v10
	v_add_f16_e32 v10, v46, v39
	v_fma_f16 v0, v0, -0.5, v9
	v_sub_f16_e32 v9, v46, v39
	v_fma_f16 v10, v10, -0.5, v11
	v_sub_f16_e32 v11, v38, v33
	v_add_f16_e32 v26, v50, v34
	v_sub_f16_e32 v12, v50, v34
	v_fma_f16 v21, v26, -0.5, v21
	v_sub_f16_e32 v26, v40, v51
	v_fma_f16 v33, v9, s4, v0
	v_fma_f16 v34, v11, s5, v10
	v_pack_b32_f16 v33, v33, v34
	v_fma_f16 v34, v12, s4, v7
	v_fma_f16 v0, v9, s5, v0
	;; [unrolled: 1-line block ×5, first 2 shown]
	v_pack_b32_f16 v0, v0, v9
	v_pack_b32_f16 v7, v7, v10
	ds_write2_b32 v20, v0, v7 offset0:118 offset1:199
	v_lshrrev_b32_e32 v7, 16, v13
	v_add_f16_e32 v0, v13, v52
	v_add_f16_e32 v9, v7, v53
	;; [unrolled: 1-line block ×4, first 2 shown]
	v_lshrrev_b32_e32 v10, 16, v14
	v_pack_b32_f16 v0, v0, v9
	v_add_f16_e32 v9, v14, v56
	v_add_f16_e32 v11, v10, v41
	;; [unrolled: 1-line block ×4, first 2 shown]
	v_pack_b32_f16 v9, v9, v11
	v_fma_f16 v37, v26, s5, v21
	ds_write2_b32 v22, v0, v9 offset0:68 offset1:149
	v_add_f16_e32 v0, v52, v55
	v_add_f16_e32 v9, v56, v57
	;; [unrolled: 1-line block ×3, first 2 shown]
	v_pack_b32_f16 v34, v34, v37
	v_fma_f16 v0, v0, -0.5, v13
	v_fma_f16 v9, v9, -0.5, v14
	v_sub_f16_e32 v11, v53, v54
	v_fma_f16 v7, v12, -0.5, v7
	v_sub_f16_e32 v12, v52, v55
	v_add_f16_e32 v14, v41, v42
	ds_write2_b32 v17, v33, v34 offset0:76 offset1:157
	v_sub_f16_e32 v13, v41, v42
	v_fma_f16 v10, v14, -0.5, v10
	v_sub_f16_e32 v14, v56, v57
	v_fma_f16 v17, v11, s4, v0
	v_fma_f16 v20, v12, s5, v7
	v_pack_b32_f16 v17, v17, v20
	v_fma_f16 v20, v13, s4, v9
	v_fma_f16 v21, v14, s5, v10
	;; [unrolled: 1-line block ×6, first 2 shown]
	v_pack_b32_f16 v0, v0, v7
	v_pack_b32_f16 v7, v9, v10
	ds_write2_b32 v16, v0, v7 offset0:152 offset1:233
	v_lshrrev_b32_e32 v7, 16, v27
	v_add_f16_e32 v0, v27, v59
	v_add_f16_e32 v9, v7, v58
	v_add_f16_e32 v0, v0, v61
	v_add_f16_e32 v9, v9, v60
	v_lshrrev_b32_e32 v10, 16, v28
	v_pack_b32_f16 v0, v0, v9
	v_add_f16_e32 v9, v28, v62
	v_add_f16_e32 v11, v10, v35
	v_add_f16_e32 v9, v9, v63
	v_add_f16_e32 v11, v11, v36
	v_pack_b32_f16 v9, v9, v11
	ds_write2_b32 v15, v0, v9 offset0:102 offset1:183
	v_add_f16_e32 v0, v59, v61
	v_fma_f16 v0, v0, -0.5, v27
	v_sub_f16_e32 v11, v58, v60
	v_fma_f16 v12, v11, s4, v0
	v_fma_f16 v0, v11, s5, v0
	v_add_f16_e32 v11, v58, v60
	v_add_f16_e32 v9, v62, v63
	v_fma_f16 v7, v11, -0.5, v7
	v_sub_f16_e32 v11, v59, v61
	v_fma_f16 v9, v9, -0.5, v28
	v_fma_f16 v13, v11, s5, v7
	v_fma_f16 v7, v11, s4, v7
	v_sub_f16_e32 v11, v35, v36
	v_fma_f16 v14, v11, s4, v9
	v_fma_f16 v9, v11, s5, v9
	v_add_f16_e32 v11, v35, v36
	v_fma_f16 v10, v11, -0.5, v10
	v_sub_f16_e32 v11, v62, v63
	v_fma_f16 v15, v11, s5, v10
	v_fma_f16 v10, v11, s4, v10
	v_add_f16_e32 v11, v65, v67
	v_pack_b32_f16 v20, v20, v21
	v_fma_f16 v11, v11, -0.5, v29
	v_sub_f16_e32 v16, v64, v66
	ds_write2_b32 v25, v17, v20 offset0:110 offset1:191
	v_fma_f16 v17, v16, s4, v11
	v_fma_f16 v11, v16, s5, v11
	v_lshrrev_b32_e32 v16, 16, v29
	v_add_f16_e32 v21, v64, v66
	v_add_f16_e32 v20, v16, v64
	v_fma_f16 v16, v21, -0.5, v16
	v_sub_f16_e32 v22, v65, v67
	v_fma_f16 v25, v22, s5, v16
	v_fma_f16 v16, v22, s4, v16
	v_add_f16_e32 v22, v68, v69
	v_fma_f16 v22, v22, -0.5, v30
	v_lshrrev_b32_e32 v26, 16, v30
	v_sub_f16_e32 v28, v31, v32
	v_add_f16_e32 v21, v29, v65
	v_add_f16_e32 v27, v30, v68
	v_fma_f16 v29, v28, s4, v22
	v_fma_f16 v22, v28, s5, v22
	v_add_f16_e32 v28, v26, v31
	v_add_f16_e32 v30, v31, v32
	v_pack_b32_f16 v12, v12, v13
	v_pack_b32_f16 v0, v0, v7
	;; [unrolled: 1-line block ×3, first 2 shown]
	v_add_f16_e32 v20, v20, v66
	v_add_f16_e32 v21, v21, v67
	;; [unrolled: 1-line block ×3, first 2 shown]
	v_fma_f16 v26, v30, -0.5, v26
	v_add_f16_e32 v27, v27, v69
	v_sub_f16_e32 v30, v68, v69
	ds_write2_b32 v19, v12, v7 offset0:16 offset1:97
	v_pack_b32_f16 v7, v9, v10
	v_fma_f16 v31, v30, s5, v26
	ds_write2_b32 v24, v0, v7 offset0:58 offset1:139
	v_pack_b32_f16 v0, v21, v20
	v_pack_b32_f16 v10, v27, v28
	v_fma_f16 v26, v30, s4, v26
	v_pack_b32_f16 v7, v17, v25
	ds_write2_b32 v23, v0, v10 offset0:136 offset1:217
	v_pack_b32_f16 v0, v29, v31
	v_pack_b32_f16 v9, v11, v16
	ds_write2_b32 v4, v7, v0 offset0:50 offset1:131
	v_pack_b32_f16 v0, v22, v26
	ds_write2_b32 v18, v9, v0 offset0:92 offset1:173
	s_waitcnt lgkmcnt(0)
	s_barrier
	s_and_saveexec_b64 s[4:5], s[0:1]
	s_cbranch_execz .LBB0_21
; %bb.20:
	v_mul_lo_u32 v0, s3, v5
	v_mul_lo_u32 v4, s2, v6
	v_mad_u64_u32 v[5:6], s[0:1], s2, v5, 0
	v_lshl_add_u32 v11, v3, 2, 0
	ds_read2_b32 v[9:10], v11 offset1:81
	v_add3_u32 v6, v6, v4, v0
	v_lshlrev_b64 v[5:6], 2, v[5:6]
	v_mov_b32_e32 v0, s11
	v_add_co_u32_e32 v5, vcc, s10, v5
	v_addc_co_u32_e32 v6, vcc, v0, v6, vcc
	v_lshlrev_b64 v[0:1], 2, v[1:2]
	v_mov_b32_e32 v4, v8
	v_add_co_u32_e32 v12, vcc, v5, v0
	v_addc_co_u32_e32 v6, vcc, v6, v1, vcc
	v_lshlrev_b64 v[0:1], 2, v[3:4]
	v_add_u32_e32 v7, 0x51, v3
	v_add_co_u32_e32 v0, vcc, v12, v0
	v_addc_co_u32_e32 v1, vcc, v6, v1, vcc
	s_waitcnt lgkmcnt(0)
	global_store_dword v[0:1], v9, off
	v_lshlrev_b64 v[0:1], 2, v[7:8]
	v_add_u32_e32 v7, 0xa2, v3
	v_add_co_u32_e32 v0, vcc, v12, v0
	v_addc_co_u32_e32 v1, vcc, v6, v1, vcc
	global_store_dword v[0:1], v10, off
	ds_read2_b32 v[0:1], v11 offset0:162 offset1:243
	v_lshlrev_b64 v[4:5], 2, v[7:8]
	v_add_u32_e32 v7, 0xf3, v3
	v_add_co_u32_e32 v4, vcc, v12, v4
	v_addc_co_u32_e32 v5, vcc, v6, v5, vcc
	s_waitcnt lgkmcnt(0)
	global_store_dword v[4:5], v0, off
	v_lshlrev_b64 v[4:5], 2, v[7:8]
	v_add_u32_e32 v0, 0x400, v11
	v_add_co_u32_e32 v4, vcc, v12, v4
	v_addc_co_u32_e32 v5, vcc, v6, v5, vcc
	global_store_dword v[4:5], v1, off
	v_add_u32_e32 v7, 0x144, v3
	ds_read2_b32 v[0:1], v0 offset0:68 offset1:149
	v_lshlrev_b64 v[4:5], 2, v[7:8]
	v_add_u32_e32 v7, 0x195, v3
	v_add_co_u32_e32 v4, vcc, v12, v4
	v_addc_co_u32_e32 v5, vcc, v6, v5, vcc
	s_waitcnt lgkmcnt(0)
	global_store_dword v[4:5], v0, off
	v_lshlrev_b64 v[4:5], 2, v[7:8]
	v_add_u32_e32 v0, 0x600, v11
	v_add_co_u32_e32 v4, vcc, v12, v4
	v_addc_co_u32_e32 v5, vcc, v6, v5, vcc
	global_store_dword v[4:5], v1, off
	v_add_u32_e32 v7, 0x1e6, v3
	;; [unrolled: 13-line block ×13, first 2 shown]
	v_lshlrev_b64 v[4:5], 2, v[7:8]
	ds_read2_b32 v[0:1], v0 offset0:92 offset1:173
	v_add_u32_e32 v7, 0x92d, v3
	v_add_co_u32_e32 v4, vcc, v12, v4
	v_lshlrev_b64 v[2:3], 2, v[7:8]
	v_addc_co_u32_e32 v5, vcc, v6, v5, vcc
	v_add_co_u32_e32 v2, vcc, v12, v2
	v_addc_co_u32_e32 v3, vcc, v6, v3, vcc
	s_waitcnt lgkmcnt(0)
	global_store_dword v[4:5], v0, off
	global_store_dword v[2:3], v1, off
.LBB0_21:
	s_endpgm
	.section	.rodata,"a",@progbits
	.p2align	6, 0x0
	.amdhsa_kernel fft_rtc_fwd_len2430_factors_10_3_3_3_3_3_wgs_81_tpt_81_halfLds_half_op_CI_CI_unitstride_sbrr_C2R_dirReg
		.amdhsa_group_segment_fixed_size 0
		.amdhsa_private_segment_fixed_size 0
		.amdhsa_kernarg_size 104
		.amdhsa_user_sgpr_count 6
		.amdhsa_user_sgpr_private_segment_buffer 1
		.amdhsa_user_sgpr_dispatch_ptr 0
		.amdhsa_user_sgpr_queue_ptr 0
		.amdhsa_user_sgpr_kernarg_segment_ptr 1
		.amdhsa_user_sgpr_dispatch_id 0
		.amdhsa_user_sgpr_flat_scratch_init 0
		.amdhsa_user_sgpr_private_segment_size 0
		.amdhsa_uses_dynamic_stack 0
		.amdhsa_system_sgpr_private_segment_wavefront_offset 0
		.amdhsa_system_sgpr_workgroup_id_x 1
		.amdhsa_system_sgpr_workgroup_id_y 0
		.amdhsa_system_sgpr_workgroup_id_z 0
		.amdhsa_system_sgpr_workgroup_info 0
		.amdhsa_system_vgpr_workitem_id 0
		.amdhsa_next_free_vgpr 101
		.amdhsa_next_free_sgpr 28
		.amdhsa_reserve_vcc 1
		.amdhsa_reserve_flat_scratch 0
		.amdhsa_float_round_mode_32 0
		.amdhsa_float_round_mode_16_64 0
		.amdhsa_float_denorm_mode_32 3
		.amdhsa_float_denorm_mode_16_64 3
		.amdhsa_dx10_clamp 1
		.amdhsa_ieee_mode 1
		.amdhsa_fp16_overflow 0
		.amdhsa_exception_fp_ieee_invalid_op 0
		.amdhsa_exception_fp_denorm_src 0
		.amdhsa_exception_fp_ieee_div_zero 0
		.amdhsa_exception_fp_ieee_overflow 0
		.amdhsa_exception_fp_ieee_underflow 0
		.amdhsa_exception_fp_ieee_inexact 0
		.amdhsa_exception_int_div_zero 0
	.end_amdhsa_kernel
	.text
.Lfunc_end0:
	.size	fft_rtc_fwd_len2430_factors_10_3_3_3_3_3_wgs_81_tpt_81_halfLds_half_op_CI_CI_unitstride_sbrr_C2R_dirReg, .Lfunc_end0-fft_rtc_fwd_len2430_factors_10_3_3_3_3_3_wgs_81_tpt_81_halfLds_half_op_CI_CI_unitstride_sbrr_C2R_dirReg
                                        ; -- End function
	.section	.AMDGPU.csdata,"",@progbits
; Kernel info:
; codeLenInByte = 22632
; NumSgprs: 32
; NumVgprs: 101
; ScratchSize: 0
; MemoryBound: 0
; FloatMode: 240
; IeeeMode: 1
; LDSByteSize: 0 bytes/workgroup (compile time only)
; SGPRBlocks: 3
; VGPRBlocks: 25
; NumSGPRsForWavesPerEU: 32
; NumVGPRsForWavesPerEU: 101
; Occupancy: 2
; WaveLimiterHint : 1
; COMPUTE_PGM_RSRC2:SCRATCH_EN: 0
; COMPUTE_PGM_RSRC2:USER_SGPR: 6
; COMPUTE_PGM_RSRC2:TRAP_HANDLER: 0
; COMPUTE_PGM_RSRC2:TGID_X_EN: 1
; COMPUTE_PGM_RSRC2:TGID_Y_EN: 0
; COMPUTE_PGM_RSRC2:TGID_Z_EN: 0
; COMPUTE_PGM_RSRC2:TIDIG_COMP_CNT: 0
	.type	__hip_cuid_1c075f4368e526b5,@object ; @__hip_cuid_1c075f4368e526b5
	.section	.bss,"aw",@nobits
	.globl	__hip_cuid_1c075f4368e526b5
__hip_cuid_1c075f4368e526b5:
	.byte	0                               ; 0x0
	.size	__hip_cuid_1c075f4368e526b5, 1

	.ident	"AMD clang version 19.0.0git (https://github.com/RadeonOpenCompute/llvm-project roc-6.4.0 25133 c7fe45cf4b819c5991fe208aaa96edf142730f1d)"
	.section	".note.GNU-stack","",@progbits
	.addrsig
	.addrsig_sym __hip_cuid_1c075f4368e526b5
	.amdgpu_metadata
---
amdhsa.kernels:
  - .args:
      - .actual_access:  read_only
        .address_space:  global
        .offset:         0
        .size:           8
        .value_kind:     global_buffer
      - .offset:         8
        .size:           8
        .value_kind:     by_value
      - .actual_access:  read_only
        .address_space:  global
        .offset:         16
        .size:           8
        .value_kind:     global_buffer
      - .actual_access:  read_only
        .address_space:  global
        .offset:         24
        .size:           8
        .value_kind:     global_buffer
      - .actual_access:  read_only
        .address_space:  global
        .offset:         32
        .size:           8
        .value_kind:     global_buffer
      - .offset:         40
        .size:           8
        .value_kind:     by_value
      - .actual_access:  read_only
        .address_space:  global
        .offset:         48
        .size:           8
        .value_kind:     global_buffer
      - .actual_access:  read_only
        .address_space:  global
        .offset:         56
        .size:           8
        .value_kind:     global_buffer
      - .offset:         64
        .size:           4
        .value_kind:     by_value
      - .actual_access:  read_only
        .address_space:  global
        .offset:         72
        .size:           8
        .value_kind:     global_buffer
      - .actual_access:  read_only
        .address_space:  global
        .offset:         80
        .size:           8
        .value_kind:     global_buffer
      - .actual_access:  read_only
        .address_space:  global
        .offset:         88
        .size:           8
        .value_kind:     global_buffer
      - .actual_access:  write_only
        .address_space:  global
        .offset:         96
        .size:           8
        .value_kind:     global_buffer
    .group_segment_fixed_size: 0
    .kernarg_segment_align: 8
    .kernarg_segment_size: 104
    .language:       OpenCL C
    .language_version:
      - 2
      - 0
    .max_flat_workgroup_size: 81
    .name:           fft_rtc_fwd_len2430_factors_10_3_3_3_3_3_wgs_81_tpt_81_halfLds_half_op_CI_CI_unitstride_sbrr_C2R_dirReg
    .private_segment_fixed_size: 0
    .sgpr_count:     32
    .sgpr_spill_count: 0
    .symbol:         fft_rtc_fwd_len2430_factors_10_3_3_3_3_3_wgs_81_tpt_81_halfLds_half_op_CI_CI_unitstride_sbrr_C2R_dirReg.kd
    .uniform_work_group_size: 1
    .uses_dynamic_stack: false
    .vgpr_count:     101
    .vgpr_spill_count: 0
    .wavefront_size: 64
amdhsa.target:   amdgcn-amd-amdhsa--gfx906
amdhsa.version:
  - 1
  - 2
...

	.end_amdgpu_metadata
